;; amdgpu-corpus repo=ROCm/rocFFT kind=compiled arch=gfx906 opt=O3
	.text
	.amdgcn_target "amdgcn-amd-amdhsa--gfx906"
	.amdhsa_code_object_version 6
	.protected	fft_rtc_fwd_len1734_factors_17_17_6_wgs_102_tpt_102_halfLds_dp_op_CI_CI_unitstride_sbrr_R2C_dirReg ; -- Begin function fft_rtc_fwd_len1734_factors_17_17_6_wgs_102_tpt_102_halfLds_dp_op_CI_CI_unitstride_sbrr_R2C_dirReg
	.globl	fft_rtc_fwd_len1734_factors_17_17_6_wgs_102_tpt_102_halfLds_dp_op_CI_CI_unitstride_sbrr_R2C_dirReg
	.p2align	8
	.type	fft_rtc_fwd_len1734_factors_17_17_6_wgs_102_tpt_102_halfLds_dp_op_CI_CI_unitstride_sbrr_R2C_dirReg,@function
fft_rtc_fwd_len1734_factors_17_17_6_wgs_102_tpt_102_halfLds_dp_op_CI_CI_unitstride_sbrr_R2C_dirReg: ; @fft_rtc_fwd_len1734_factors_17_17_6_wgs_102_tpt_102_halfLds_dp_op_CI_CI_unitstride_sbrr_R2C_dirReg
; %bb.0:
	s_load_dwordx4 s[8:11], s[4:5], 0x58
	s_load_dwordx4 s[12:15], s[4:5], 0x0
	;; [unrolled: 1-line block ×3, first 2 shown]
	v_mul_u32_u24_e32 v1, 0x283, v0
	v_add_u32_sdwa v5, s6, v1 dst_sel:DWORD dst_unused:UNUSED_PAD src0_sel:DWORD src1_sel:WORD_1
	v_mov_b32_e32 v3, 0
	s_waitcnt lgkmcnt(0)
	v_cmp_lt_u64_e64 s[0:1], s[14:15], 2
	v_mov_b32_e32 v1, 0
	v_mov_b32_e32 v6, v3
	s_and_b64 vcc, exec, s[0:1]
	v_mov_b32_e32 v2, 0
	s_cbranch_vccnz .LBB0_8
; %bb.1:
	s_load_dwordx2 s[0:1], s[4:5], 0x10
	s_add_u32 s2, s18, 8
	s_addc_u32 s3, s19, 0
	s_add_u32 s6, s16, 8
	v_mov_b32_e32 v1, 0
	s_addc_u32 s7, s17, 0
	v_mov_b32_e32 v2, 0
	s_waitcnt lgkmcnt(0)
	s_add_u32 s20, s0, 8
	v_mov_b32_e32 v73, v2
	s_addc_u32 s21, s1, 0
	s_mov_b64 s[22:23], 1
	v_mov_b32_e32 v72, v1
.LBB0_2:                                ; =>This Inner Loop Header: Depth=1
	s_load_dwordx2 s[24:25], s[20:21], 0x0
                                        ; implicit-def: $vgpr76_vgpr77
	s_waitcnt lgkmcnt(0)
	v_or_b32_e32 v4, s25, v6
	v_cmp_ne_u64_e32 vcc, 0, v[3:4]
	s_and_saveexec_b64 s[0:1], vcc
	s_xor_b64 s[26:27], exec, s[0:1]
	s_cbranch_execz .LBB0_4
; %bb.3:                                ;   in Loop: Header=BB0_2 Depth=1
	v_cvt_f32_u32_e32 v4, s24
	v_cvt_f32_u32_e32 v7, s25
	s_sub_u32 s0, 0, s24
	s_subb_u32 s1, 0, s25
	v_mac_f32_e32 v4, 0x4f800000, v7
	v_rcp_f32_e32 v4, v4
	v_mul_f32_e32 v4, 0x5f7ffffc, v4
	v_mul_f32_e32 v7, 0x2f800000, v4
	v_trunc_f32_e32 v7, v7
	v_mac_f32_e32 v4, 0xcf800000, v7
	v_cvt_u32_f32_e32 v7, v7
	v_cvt_u32_f32_e32 v4, v4
	v_mul_lo_u32 v8, s0, v7
	v_mul_hi_u32 v9, s0, v4
	v_mul_lo_u32 v11, s1, v4
	v_mul_lo_u32 v10, s0, v4
	v_add_u32_e32 v8, v9, v8
	v_add_u32_e32 v8, v8, v11
	v_mul_hi_u32 v9, v4, v10
	v_mul_lo_u32 v11, v4, v8
	v_mul_hi_u32 v13, v4, v8
	v_mul_hi_u32 v12, v7, v10
	v_mul_lo_u32 v10, v7, v10
	v_mul_hi_u32 v14, v7, v8
	v_add_co_u32_e32 v9, vcc, v9, v11
	v_addc_co_u32_e32 v11, vcc, 0, v13, vcc
	v_mul_lo_u32 v8, v7, v8
	v_add_co_u32_e32 v9, vcc, v9, v10
	v_addc_co_u32_e32 v9, vcc, v11, v12, vcc
	v_addc_co_u32_e32 v10, vcc, 0, v14, vcc
	v_add_co_u32_e32 v8, vcc, v9, v8
	v_addc_co_u32_e32 v9, vcc, 0, v10, vcc
	v_add_co_u32_e32 v4, vcc, v4, v8
	v_addc_co_u32_e32 v7, vcc, v7, v9, vcc
	v_mul_lo_u32 v8, s0, v7
	v_mul_hi_u32 v9, s0, v4
	v_mul_lo_u32 v10, s1, v4
	v_mul_lo_u32 v11, s0, v4
	v_add_u32_e32 v8, v9, v8
	v_add_u32_e32 v8, v8, v10
	v_mul_lo_u32 v12, v4, v8
	v_mul_hi_u32 v13, v4, v11
	v_mul_hi_u32 v14, v4, v8
	v_mul_hi_u32 v10, v7, v11
	v_mul_lo_u32 v11, v7, v11
	v_mul_hi_u32 v9, v7, v8
	v_add_co_u32_e32 v12, vcc, v13, v12
	v_addc_co_u32_e32 v13, vcc, 0, v14, vcc
	v_mul_lo_u32 v8, v7, v8
	v_add_co_u32_e32 v11, vcc, v12, v11
	v_addc_co_u32_e32 v10, vcc, v13, v10, vcc
	v_addc_co_u32_e32 v9, vcc, 0, v9, vcc
	v_add_co_u32_e32 v8, vcc, v10, v8
	v_addc_co_u32_e32 v9, vcc, 0, v9, vcc
	v_add_co_u32_e32 v4, vcc, v4, v8
	v_addc_co_u32_e32 v9, vcc, v7, v9, vcc
	v_mad_u64_u32 v[7:8], s[0:1], v5, v9, 0
	v_mul_hi_u32 v10, v5, v4
	v_add_co_u32_e32 v11, vcc, v10, v7
	v_addc_co_u32_e32 v12, vcc, 0, v8, vcc
	v_mad_u64_u32 v[7:8], s[0:1], v6, v4, 0
	v_mad_u64_u32 v[9:10], s[0:1], v6, v9, 0
	v_add_co_u32_e32 v4, vcc, v11, v7
	v_addc_co_u32_e32 v4, vcc, v12, v8, vcc
	v_addc_co_u32_e32 v7, vcc, 0, v10, vcc
	v_add_co_u32_e32 v4, vcc, v4, v9
	v_addc_co_u32_e32 v9, vcc, 0, v7, vcc
	v_mul_lo_u32 v10, s25, v4
	v_mul_lo_u32 v11, s24, v9
	v_mad_u64_u32 v[7:8], s[0:1], s24, v4, 0
	v_add3_u32 v8, v8, v11, v10
	v_sub_u32_e32 v10, v6, v8
	v_mov_b32_e32 v11, s25
	v_sub_co_u32_e32 v7, vcc, v5, v7
	v_subb_co_u32_e64 v10, s[0:1], v10, v11, vcc
	v_subrev_co_u32_e64 v11, s[0:1], s24, v7
	v_subbrev_co_u32_e64 v10, s[0:1], 0, v10, s[0:1]
	v_cmp_le_u32_e64 s[0:1], s25, v10
	v_cndmask_b32_e64 v12, 0, -1, s[0:1]
	v_cmp_le_u32_e64 s[0:1], s24, v11
	v_cndmask_b32_e64 v11, 0, -1, s[0:1]
	v_cmp_eq_u32_e64 s[0:1], s25, v10
	v_cndmask_b32_e64 v10, v12, v11, s[0:1]
	v_add_co_u32_e64 v11, s[0:1], 2, v4
	v_addc_co_u32_e64 v12, s[0:1], 0, v9, s[0:1]
	v_add_co_u32_e64 v13, s[0:1], 1, v4
	v_addc_co_u32_e64 v14, s[0:1], 0, v9, s[0:1]
	v_subb_co_u32_e32 v8, vcc, v6, v8, vcc
	v_cmp_ne_u32_e64 s[0:1], 0, v10
	v_cmp_le_u32_e32 vcc, s25, v8
	v_cndmask_b32_e64 v10, v14, v12, s[0:1]
	v_cndmask_b32_e64 v12, 0, -1, vcc
	v_cmp_le_u32_e32 vcc, s24, v7
	v_cndmask_b32_e64 v7, 0, -1, vcc
	v_cmp_eq_u32_e32 vcc, s25, v8
	v_cndmask_b32_e32 v7, v12, v7, vcc
	v_cmp_ne_u32_e32 vcc, 0, v7
	v_cndmask_b32_e64 v7, v13, v11, s[0:1]
	v_cndmask_b32_e32 v77, v9, v10, vcc
	v_cndmask_b32_e32 v76, v4, v7, vcc
.LBB0_4:                                ;   in Loop: Header=BB0_2 Depth=1
	s_andn2_saveexec_b64 s[0:1], s[26:27]
	s_cbranch_execz .LBB0_6
; %bb.5:                                ;   in Loop: Header=BB0_2 Depth=1
	v_cvt_f32_u32_e32 v4, s24
	s_sub_i32 s26, 0, s24
	v_mov_b32_e32 v77, v3
	v_rcp_iflag_f32_e32 v4, v4
	v_mul_f32_e32 v4, 0x4f7ffffe, v4
	v_cvt_u32_f32_e32 v4, v4
	v_mul_lo_u32 v7, s26, v4
	v_mul_hi_u32 v7, v4, v7
	v_add_u32_e32 v4, v4, v7
	v_mul_hi_u32 v4, v5, v4
	v_mul_lo_u32 v7, v4, s24
	v_add_u32_e32 v8, 1, v4
	v_sub_u32_e32 v7, v5, v7
	v_subrev_u32_e32 v9, s24, v7
	v_cmp_le_u32_e32 vcc, s24, v7
	v_cndmask_b32_e32 v7, v7, v9, vcc
	v_cndmask_b32_e32 v4, v4, v8, vcc
	v_add_u32_e32 v8, 1, v4
	v_cmp_le_u32_e32 vcc, s24, v7
	v_cndmask_b32_e32 v76, v4, v8, vcc
.LBB0_6:                                ;   in Loop: Header=BB0_2 Depth=1
	s_or_b64 exec, exec, s[0:1]
	v_mul_lo_u32 v4, v77, s24
	v_mul_lo_u32 v9, v76, s25
	v_mad_u64_u32 v[7:8], s[0:1], v76, s24, 0
	s_load_dwordx2 s[0:1], s[6:7], 0x0
	s_load_dwordx2 s[24:25], s[2:3], 0x0
	v_add3_u32 v4, v8, v9, v4
	v_sub_co_u32_e32 v5, vcc, v5, v7
	v_subb_co_u32_e32 v4, vcc, v6, v4, vcc
	s_waitcnt lgkmcnt(0)
	v_mul_lo_u32 v6, s0, v4
	v_mul_lo_u32 v7, s1, v5
	v_mad_u64_u32 v[1:2], s[0:1], s0, v5, v[1:2]
	v_mul_lo_u32 v4, s24, v4
	v_mul_lo_u32 v8, s25, v5
	v_mad_u64_u32 v[72:73], s[0:1], s24, v5, v[72:73]
	s_add_u32 s22, s22, 1
	s_addc_u32 s23, s23, 0
	s_add_u32 s2, s2, 8
	v_add3_u32 v73, v8, v73, v4
	s_addc_u32 s3, s3, 0
	v_mov_b32_e32 v4, s14
	s_add_u32 s6, s6, 8
	v_mov_b32_e32 v5, s15
	s_addc_u32 s7, s7, 0
	v_cmp_ge_u64_e32 vcc, s[22:23], v[4:5]
	s_add_u32 s20, s20, 8
	v_add3_u32 v2, v7, v2, v6
	s_addc_u32 s21, s21, 0
	s_cbranch_vccnz .LBB0_9
; %bb.7:                                ;   in Loop: Header=BB0_2 Depth=1
	v_mov_b32_e32 v5, v76
	v_mov_b32_e32 v6, v77
	s_branch .LBB0_2
.LBB0_8:
	v_mov_b32_e32 v73, v2
	v_mov_b32_e32 v77, v6
	;; [unrolled: 1-line block ×4, first 2 shown]
.LBB0_9:
	s_load_dwordx2 s[4:5], s[4:5], 0x28
	s_lshl_b64 s[6:7], s[14:15], 3
	s_add_u32 s2, s18, s6
	s_addc_u32 s3, s19, s7
                                        ; implicit-def: $vgpr74
                                        ; implicit-def: $vgpr78
                                        ; implicit-def: $vgpr80
	s_waitcnt lgkmcnt(0)
	v_cmp_gt_u64_e64 s[0:1], s[4:5], v[76:77]
	v_cmp_le_u64_e32 vcc, s[4:5], v[76:77]
	s_and_saveexec_b64 s[4:5], vcc
	s_xor_b64 s[4:5], exec, s[4:5]
; %bb.10:
	s_mov_b32 s14, 0x2828283
	v_mul_hi_u32 v1, v0, s14
	v_mul_u32_u24_e32 v1, 0x66, v1
	v_sub_u32_e32 v74, v0, v1
	v_add_u32_e32 v78, 0x66, v74
	v_add_u32_e32 v80, 0xcc, v74
                                        ; implicit-def: $vgpr0
                                        ; implicit-def: $vgpr1_vgpr2
; %bb.11:
	s_andn2_saveexec_b64 s[4:5], s[4:5]
	s_cbranch_execz .LBB0_13
; %bb.12:
	s_add_u32 s6, s16, s6
	s_addc_u32 s7, s17, s7
	s_load_dwordx2 s[6:7], s[6:7], 0x0
	s_mov_b32 s14, 0x2828283
	v_mul_hi_u32 v5, v0, s14
	s_waitcnt lgkmcnt(0)
	v_mul_lo_u32 v6, s7, v76
	v_mul_lo_u32 v7, s6, v77
	v_mad_u64_u32 v[3:4], s[6:7], s6, v76, 0
	v_mul_u32_u24_e32 v5, 0x66, v5
	v_sub_u32_e32 v74, v0, v5
	v_add3_u32 v4, v4, v7, v6
	v_lshlrev_b64 v[3:4], 4, v[3:4]
	v_mov_b32_e32 v0, s9
	v_add_co_u32_e32 v3, vcc, s8, v3
	v_addc_co_u32_e32 v4, vcc, v0, v4, vcc
	v_lshlrev_b64 v[0:1], 4, v[1:2]
	v_lshlrev_b32_e32 v75, 4, v74
	v_add_co_u32_e32 v0, vcc, v3, v0
	v_addc_co_u32_e32 v1, vcc, v4, v1, vcc
	v_add_co_u32_e32 v55, vcc, v0, v75
	v_addc_co_u32_e32 v56, vcc, 0, v1, vcc
	s_movk_i32 s6, 0x1000
	v_add_co_u32_e32 v24, vcc, s6, v55
	v_addc_co_u32_e32 v25, vcc, 0, v56, vcc
	s_movk_i32 s6, 0x2000
	;; [unrolled: 3-line block ×4, first 2 shown]
	v_add_co_u32_e32 v57, vcc, s6, v55
	v_addc_co_u32_e32 v58, vcc, 0, v56, vcc
	v_add_co_u32_e32 v68, vcc, 0x5000, v55
	v_addc_co_u32_e32 v69, vcc, 0, v56, vcc
	v_add_co_u32_e32 v70, vcc, 0x6000, v55
	global_load_dwordx4 v[0:3], v[55:56], off
	global_load_dwordx4 v[4:7], v[55:56], off offset:1632
	global_load_dwordx4 v[8:11], v[55:56], off offset:3264
	;; [unrolled: 1-line block ×5, first 2 shown]
	s_nop 0
	global_load_dwordx4 v[24:27], v[32:33], off offset:1600
	global_load_dwordx4 v[28:31], v[32:33], off offset:3232
	s_nop 0
	global_load_dwordx4 v[32:35], v[48:49], off offset:768
	global_load_dwordx4 v[36:39], v[48:49], off offset:2400
	global_load_dwordx4 v[40:43], v[48:49], off offset:4032
	global_load_dwordx4 v[44:47], v[57:58], off offset:1568
	s_nop 0
	global_load_dwordx4 v[48:51], v[57:58], off offset:3200
	global_load_dwordx4 v[52:55], v[68:69], off offset:736
	v_addc_co_u32_e32 v71, vcc, 0, v56, vcc
	global_load_dwordx4 v[56:59], v[68:69], off offset:2368
	global_load_dwordx4 v[60:63], v[68:69], off offset:4000
	;; [unrolled: 1-line block ×3, first 2 shown]
	v_add_u32_e32 v78, 0x66, v74
	v_add_u32_e32 v80, 0xcc, v74
	;; [unrolled: 1-line block ×3, first 2 shown]
	s_waitcnt vmcnt(16)
	ds_write_b128 v68, v[0:3]
	s_waitcnt vmcnt(15)
	ds_write_b128 v68, v[4:7] offset:1632
	s_waitcnt vmcnt(14)
	ds_write_b128 v68, v[8:11] offset:3264
	;; [unrolled: 2-line block ×16, first 2 shown]
.LBB0_13:
	s_or_b64 exec, exec, s[4:5]
	v_lshl_add_u32 v141, v74, 4, 0
	s_load_dwordx2 s[4:5], s[2:3], 0x0
	s_waitcnt lgkmcnt(0)
	s_barrier
	ds_read_b128 v[0:3], v141
	ds_read_b128 v[4:7], v141 offset:1632
	ds_read_b128 v[8:11], v141 offset:3264
	;; [unrolled: 1-line block ×3, first 2 shown]
	s_mov_b32 s26, 0x5d8e7cdc
	s_mov_b32 s27, 0xbfd71e95
	s_waitcnt lgkmcnt(2)
	v_add_f64 v[12:13], v[0:1], v[4:5]
	v_add_f64 v[14:15], v[2:3], v[6:7]
	s_mov_b32 s20, 0x370991
	s_mov_b32 s38, 0x2a9d6da3
	;; [unrolled: 1-line block ×6, first 2 shown]
	s_waitcnt lgkmcnt(1)
	v_add_f64 v[12:13], v[12:13], v[8:9]
	v_add_f64 v[14:15], v[14:15], v[10:11]
	s_mov_b32 s16, 0x75d4884
	s_mov_b32 s42, 0x7c9e640b
	ds_read_b128 v[20:23], v141 offset:8160
	s_mov_b32 s30, 0xeb564b22
	s_mov_b32 s8, 0xc61f0d01
	;; [unrolled: 1-line block ×3, first 2 shown]
	s_waitcnt lgkmcnt(1)
	v_add_f64 v[24:25], v[12:13], v[16:17]
	v_add_f64 v[26:27], v[14:15], v[18:19]
	ds_read_b128 v[12:15], v141 offset:6528
	s_mov_b32 s24, 0x4363dd80
	s_mov_b32 s36, 0xacd6c6b4
	;; [unrolled: 1-line block ×5, first 2 shown]
	s_waitcnt lgkmcnt(0)
	v_add_f64 v[24:25], v[24:25], v[12:13]
	v_add_f64 v[26:27], v[26:27], v[14:15]
	s_mov_b32 s9, 0xbfd183b1
	s_mov_b32 s23, 0xbfe9895b
	ds_read_b128 v[28:31], v141 offset:11424
	s_mov_b32 s25, 0xbfe0d888
	s_mov_b32 s37, 0xbfc7851a
	;; [unrolled: 1-line block ×3, first 2 shown]
	v_add_f64 v[32:33], v[24:25], v[20:21]
	v_add_f64 v[34:35], v[26:27], v[22:23]
	ds_read_b128 v[24:27], v141 offset:9792
	s_mov_b32 s2, 0x3259b75e
	s_mov_b32 s18, 0x6ed5f1bb
	;; [unrolled: 1-line block ×5, first 2 shown]
	s_waitcnt lgkmcnt(0)
	v_add_f64 v[36:37], v[32:33], v[24:25]
	v_add_f64 v[38:39], v[34:35], v[26:27]
	ds_read_b128 v[32:35], v141 offset:13056
	ds_read_b128 v[48:51], v141 offset:14688
	;; [unrolled: 1-line block ×8, first 2 shown]
	s_waitcnt lgkmcnt(5)
	v_add_f64 v[40:41], v[28:29], v[60:61]
	s_waitcnt lgkmcnt(4)
	v_add_f64 v[58:59], v[24:25], -v[81:82]
	s_waitcnt lgkmcnt(3)
	v_add_f64 v[56:57], v[22:23], v[95:96]
	v_add_f64 v[42:43], v[32:33], -v[48:49]
	v_add_f64 v[36:37], v[36:37], v[28:29]
	v_add_f64 v[38:39], v[38:39], v[30:31]
	v_add_f64 v[46:47], v[34:35], -v[50:51]
	v_add_f64 v[64:65], v[20:21], -v[93:94]
	;; [unrolled: 1-line block ×4, first 2 shown]
	s_waitcnt lgkmcnt(2)
	v_add_f64 v[68:69], v[12:13], v[101:102]
	v_add_f64 v[66:67], v[14:15], v[103:104]
	v_add_f64 v[44:45], v[36:37], v[32:33]
	v_add_f64 v[52:53], v[38:39], v[34:35]
	v_add_f64 v[38:39], v[32:33], v[48:49]
	v_add_f64 v[36:37], v[34:35], v[50:51]
	v_add_f64 v[87:88], v[14:15], -v[103:104]
	ds_read_b128 v[113:116], v141 offset:26112
	s_waitcnt lgkmcnt(2)
	v_add_f64 v[85:86], v[16:17], v[105:106]
	v_add_f64 v[91:92], v[16:17], -v[105:106]
	v_add_f64 v[32:33], v[44:45], v[48:49]
	v_add_f64 v[34:35], v[52:53], v[50:51]
	v_add_f64 v[52:53], v[28:29], -v[60:61]
	v_add_f64 v[48:49], v[24:25], v[81:82]
	v_add_f64 v[44:45], v[30:31], v[62:63]
	;; [unrolled: 1-line block ×3, first 2 shown]
	s_waitcnt lgkmcnt(1)
	v_add_f64 v[89:90], v[10:11], v[111:112]
	s_waitcnt lgkmcnt(0)
	v_add_f64 v[16:17], v[6:7], -v[115:116]
	v_add_f64 v[24:25], v[32:33], v[60:61]
	v_add_f64 v[28:29], v[34:35], v[62:63]
	;; [unrolled: 1-line block ×3, first 2 shown]
	v_add_f64 v[62:63], v[26:27], -v[83:84]
	v_add_f64 v[97:98], v[8:9], -v[109:110]
	;; [unrolled: 1-line block ×3, first 2 shown]
	s_mov_b32 s3, 0x3fb79ee6
	v_mul_f64 v[26:27], v[16:17], s[22:23]
	v_add_f64 v[20:21], v[24:25], v[81:82]
	v_add_f64 v[22:23], v[28:29], v[83:84]
	v_add_f64 v[83:84], v[12:13], -v[101:102]
	v_add_f64 v[81:82], v[18:19], v[107:108]
	v_mul_f64 v[24:25], v[16:17], s[14:15]
	s_mov_b32 s19, 0xbfe348c8
	s_mov_b32 s29, 0xbfeb34fa
	;; [unrolled: 1-line block ×3, first 2 shown]
	v_add_f64 v[12:13], v[20:21], v[93:94]
	v_add_f64 v[14:15], v[22:23], v[95:96]
	;; [unrolled: 1-line block ×3, first 2 shown]
	v_add_f64 v[95:96], v[18:19], -v[107:108]
	v_add_f64 v[18:19], v[4:5], -v[113:114]
	v_mul_f64 v[20:21], v[16:17], s[42:43]
	v_mul_f64 v[22:23], v[16:17], s[30:31]
	;; [unrolled: 1-line block ×3, first 2 shown]
	v_add_f64 v[8:9], v[12:13], v[101:102]
	v_add_f64 v[10:11], v[14:15], v[103:104]
	;; [unrolled: 1-line block ×3, first 2 shown]
	v_mul_f64 v[4:5], v[16:17], s[26:27]
	v_add_f64 v[14:15], v[6:7], v[115:116]
	v_mul_f64 v[6:7], v[16:17], s[38:39]
	v_mul_f64 v[117:118], v[18:19], s[30:31]
	;; [unrolled: 1-line block ×3, first 2 shown]
	v_add_f64 v[8:9], v[8:9], v[105:106]
	v_add_f64 v[10:11], v[10:11], v[107:108]
	v_fma_f64 v[103:104], v[12:13], s[8:9], -v[24:25]
	v_fma_f64 v[28:29], v[12:13], s[20:21], -v[4:5]
	v_fma_f64 v[30:31], v[12:13], s[20:21], v[4:5]
	v_fma_f64 v[32:33], v[12:13], s[16:17], -v[6:7]
	v_fma_f64 v[34:35], v[12:13], s[6:7], -v[20:21]
	v_fma_f64 v[20:21], v[12:13], s[6:7], v[20:21]
	v_add_f64 v[4:5], v[8:9], v[109:110]
	v_add_f64 v[8:9], v[10:11], v[111:112]
	v_fma_f64 v[10:11], v[12:13], s[16:17], v[6:7]
	v_mul_f64 v[109:110], v[18:19], s[26:27]
	v_fma_f64 v[101:102], v[12:13], s[2:3], -v[22:23]
	v_fma_f64 v[22:23], v[12:13], s[2:3], v[22:23]
	v_fma_f64 v[105:106], v[12:13], s[18:19], -v[26:27]
	v_fma_f64 v[26:27], v[12:13], s[18:19], v[26:27]
	v_add_f64 v[4:5], v[4:5], v[113:114]
	v_add_f64 v[6:7], v[8:9], v[115:116]
	v_fma_f64 v[8:9], v[12:13], s[8:9], v[24:25]
	v_mul_f64 v[24:25], v[16:17], s[24:25]
	v_mul_f64 v[16:17], v[16:17], s[36:37]
	;; [unrolled: 1-line block ×8, first 2 shown]
	v_fma_f64 v[107:108], v[12:13], s[28:29], -v[24:25]
	v_fma_f64 v[24:25], v[12:13], s[28:29], v[24:25]
	v_fma_f64 v[129:130], v[12:13], s[34:35], -v[16:17]
	v_fma_f64 v[12:13], v[12:13], s[34:35], v[16:17]
	v_fma_f64 v[16:17], v[14:15], s[20:21], v[109:110]
	v_fma_f64 v[109:110], v[14:15], s[20:21], -v[109:110]
	v_fma_f64 v[115:116], v[14:15], s[16:17], v[111:112]
	v_fma_f64 v[111:112], v[14:15], s[16:17], -v[111:112]
	;; [unrolled: 2-line block ×8, first 2 shown]
	v_add_f64 v[18:19], v[0:1], v[28:29]
	v_add_f64 v[16:17], v[2:3], v[16:17]
	v_add_f64 v[148:149], v[0:1], v[32:33]
	v_add_f64 v[154:155], v[0:1], v[34:35]
	v_fma_f64 v[32:33], v[93:94], s[16:17], -v[144:145]
	v_fma_f64 v[34:35], v[89:90], s[16:17], v[146:147]
	v_mul_f64 v[158:159], v[95:96], s[42:43]
	v_mul_f64 v[160:161], v[91:92], s[42:43]
	v_add_f64 v[28:29], v[0:1], v[30:31]
	v_add_f64 v[30:31], v[2:3], v[109:110]
	;; [unrolled: 1-line block ×3, first 2 shown]
	v_mul_f64 v[168:169], v[87:88], s[30:31]
	v_add_f64 v[18:19], v[32:33], v[18:19]
	v_add_f64 v[16:17], v[34:35], v[16:17]
	v_fma_f64 v[101:102], v[85:86], s[6:7], -v[158:159]
	v_fma_f64 v[109:110], v[81:82], s[6:7], v[160:161]
	v_mul_f64 v[170:171], v[83:84], s[30:31]
	v_add_f64 v[172:173], v[0:1], v[22:23]
	v_add_f64 v[34:35], v[2:3], v[131:132]
	v_fma_f64 v[22:23], v[68:69], s[2:3], -v[168:169]
	v_mul_f64 v[131:132], v[70:71], s[14:15]
	v_mul_f64 v[176:177], v[64:65], s[14:15]
	v_add_f64 v[18:19], v[101:102], v[18:19]
	v_add_f64 v[16:17], v[109:110], v[16:17]
	v_fma_f64 v[101:102], v[66:67], s[2:3], v[170:171]
	v_add_f64 v[125:126], v[0:1], v[8:9]
	v_add_f64 v[123:124], v[2:3], v[133:134]
	v_mul_f64 v[133:134], v[62:63], s[22:23]
	v_mul_f64 v[178:179], v[58:59], s[22:23]
	v_add_f64 v[166:167], v[2:3], v[127:128]
	v_add_f64 v[8:9], v[22:23], v[18:19]
	v_fma_f64 v[18:19], v[60:61], s[8:9], -v[131:132]
	v_add_f64 v[16:17], v[101:102], v[16:17]
	v_fma_f64 v[22:23], v[56:57], s[8:9], v[176:177]
	v_add_f64 v[174:175], v[2:3], v[117:118]
	v_add_f64 v[127:128], v[2:3], v[119:120]
	;; [unrolled: 1-line block ×4, first 2 shown]
	v_mul_f64 v[26:27], v[54:55], s[24:25]
	v_add_f64 v[8:9], v[18:19], v[8:9]
	v_fma_f64 v[18:19], v[48:49], s[18:19], -v[133:134]
	v_add_f64 v[16:17], v[22:23], v[16:17]
	v_fma_f64 v[22:23], v[50:51], s[18:19], v[178:179]
	v_mul_f64 v[135:136], v[52:53], s[24:25]
	v_add_f64 v[162:163], v[2:3], v[113:114]
	v_add_f64 v[113:114], v[0:1], v[107:108]
	;; [unrolled: 1-line block ×5, first 2 shown]
	v_fma_f64 v[18:19], v[40:41], s[28:29], -v[26:27]
	v_add_f64 v[16:17], v[22:23], v[16:17]
	v_fma_f64 v[22:23], v[44:45], s[28:29], v[135:136]
	v_mul_f64 v[24:25], v[46:47], s[36:37]
	v_mul_f64 v[129:130], v[42:43], s[36:37]
	v_add_f64 v[150:151], v[2:3], v[115:116]
	v_add_f64 v[10:11], v[0:1], v[10:11]
	;; [unrolled: 1-line block ×12, first 2 shown]
	v_fma_f64 v[0:1], v[93:94], s[16:17], v[144:145]
	v_fma_f64 v[2:3], v[89:90], s[16:17], -v[146:147]
	v_add_f64 v[8:9], v[18:19], v[8:9]
	v_add_f64 v[12:13], v[22:23], v[16:17]
	v_fma_f64 v[14:15], v[38:39], s[34:35], -v[24:25]
	v_fma_f64 v[16:17], v[36:37], s[34:35], v[129:130]
	v_mul_f64 v[18:19], v[99:100], s[30:31]
	v_mul_f64 v[22:23], v[97:98], s[30:31]
	v_add_f64 v[28:29], v[0:1], v[28:29]
	v_add_f64 v[30:31], v[2:3], v[30:31]
	v_fma_f64 v[137:138], v[85:86], s[6:7], v[158:159]
	v_fma_f64 v[139:140], v[81:82], s[6:7], -v[160:161]
	v_add_f64 v[0:1], v[14:15], v[8:9]
	v_add_f64 v[2:3], v[16:17], v[12:13]
	v_fma_f64 v[8:9], v[93:94], s[2:3], -v[18:19]
	v_fma_f64 v[12:13], v[89:90], s[2:3], v[22:23]
	v_mul_f64 v[14:15], v[95:96], s[22:23]
	v_mul_f64 v[16:17], v[91:92], s[22:23]
	v_add_f64 v[28:29], v[137:138], v[28:29]
	v_add_f64 v[30:31], v[139:140], v[30:31]
	v_fma_f64 v[137:138], v[68:69], s[2:3], v[168:169]
	v_fma_f64 v[139:140], v[66:67], s[2:3], -v[170:171]
	v_add_f64 v[8:9], v[8:9], v[148:149]
	v_add_f64 v[12:13], v[12:13], v[150:151]
	v_fma_f64 v[142:143], v[85:86], s[18:19], -v[14:15]
	v_fma_f64 v[144:145], v[81:82], s[18:19], v[16:17]
	v_mul_f64 v[146:147], v[87:88], s[36:37]
	v_mul_f64 v[148:149], v[83:84], s[36:37]
	s_mov_b32 s53, 0x3fe0d888
	s_mov_b32 s52, s24
	v_add_f64 v[28:29], v[137:138], v[28:29]
	v_add_f64 v[30:31], v[139:140], v[30:31]
	v_fma_f64 v[131:132], v[60:61], s[8:9], v[131:132]
	v_fma_f64 v[137:138], v[56:57], s[8:9], -v[176:177]
	v_add_f64 v[8:9], v[142:143], v[8:9]
	v_add_f64 v[12:13], v[144:145], v[12:13]
	v_fma_f64 v[139:140], v[68:69], s[34:35], -v[146:147]
	v_fma_f64 v[142:143], v[66:67], s[34:35], v[148:149]
	v_mul_f64 v[144:145], v[70:71], s[52:53]
	v_mul_f64 v[150:151], v[64:65], s[52:53]
	s_mov_b32 s49, 0x3feec746
	s_mov_b32 s48, s14
	;; [unrolled: 12-line block ×3, first 2 shown]
	v_add_f64 v[28:29], v[131:132], v[28:29]
	v_add_f64 v[30:31], v[133:134], v[30:31]
	v_fma_f64 v[26:27], v[40:41], s[28:29], v[26:27]
	v_fma_f64 v[131:132], v[44:45], s[28:29], -v[135:136]
	v_add_f64 v[8:9], v[137:138], v[8:9]
	v_add_f64 v[12:13], v[139:140], v[12:13]
	v_fma_f64 v[133:134], v[48:49], s[8:9], -v[142:143]
	v_fma_f64 v[135:136], v[50:51], s[8:9], v[158:159]
	v_mul_f64 v[137:138], v[54:55], s[40:41]
	v_mul_f64 v[139:140], v[52:53], s[40:41]
	v_fma_f64 v[18:19], v[93:94], s[2:3], v[18:19]
	v_fma_f64 v[22:23], v[89:90], s[2:3], -v[22:23]
	s_mov_b32 s45, 0x3fd71e95
	s_mov_b32 s44, s26
	v_add_f64 v[26:27], v[26:27], v[28:29]
	v_add_f64 v[28:29], v[131:132], v[30:31]
	;; [unrolled: 1-line block ×4, first 2 shown]
	v_fma_f64 v[30:31], v[40:41], s[6:7], -v[137:138]
	v_fma_f64 v[131:132], v[44:45], s[6:7], v[139:140]
	v_mul_f64 v[133:134], v[46:47], s[44:45]
	v_mul_f64 v[135:136], v[42:43], s[44:45]
	v_add_f64 v[10:11], v[18:19], v[10:11]
	v_add_f64 v[18:19], v[22:23], v[152:153]
	v_fma_f64 v[14:15], v[85:86], s[18:19], v[14:15]
	v_fma_f64 v[16:17], v[81:82], s[18:19], -v[16:17]
	v_fma_f64 v[22:23], v[38:39], s[34:35], v[24:25]
	v_fma_f64 v[24:25], v[36:37], s[34:35], -v[129:130]
	v_add_f64 v[30:31], v[30:31], v[8:9]
	v_add_f64 v[12:13], v[131:132], v[12:13]
	v_fma_f64 v[129:130], v[38:39], s[20:21], -v[133:134]
	v_fma_f64 v[131:132], v[36:37], s[20:21], v[135:136]
	v_add_f64 v[14:15], v[14:15], v[10:11]
	v_add_f64 v[152:153], v[16:17], v[18:19]
	v_fma_f64 v[146:147], v[68:69], s[34:35], v[146:147]
	v_fma_f64 v[148:149], v[66:67], s[34:35], -v[148:149]
	v_add_f64 v[8:9], v[22:23], v[26:27]
	v_add_f64 v[10:11], v[24:25], v[28:29]
	v_mul_f64 v[22:23], v[99:100], s[22:23]
	v_mul_f64 v[24:25], v[97:98], s[22:23]
	s_mov_b32 s57, 0x3fc7851a
	s_mov_b32 s56, s36
	v_add_f64 v[16:17], v[129:130], v[30:31]
	v_add_f64 v[18:19], v[131:132], v[12:13]
	;; [unrolled: 1-line block ×4, first 2 shown]
	v_fma_f64 v[26:27], v[60:61], s[28:29], v[144:145]
	v_fma_f64 v[28:29], v[56:57], s[28:29], -v[150:151]
	v_fma_f64 v[30:31], v[93:94], s[18:19], -v[22:23]
	v_fma_f64 v[129:130], v[89:90], s[18:19], v[24:25]
	v_mul_f64 v[131:132], v[95:96], s[56:57]
	v_mul_f64 v[144:145], v[91:92], s[56:57]
	v_mul_f64 v[148:149], v[87:88], s[48:49]
	v_mul_f64 v[150:151], v[83:84], s[48:49]
	v_add_f64 v[12:13], v[26:27], v[12:13]
	v_add_f64 v[14:15], v[28:29], v[14:15]
	v_fma_f64 v[26:27], v[48:49], s[8:9], v[142:143]
	v_fma_f64 v[28:29], v[50:51], s[8:9], -v[158:159]
	v_add_f64 v[30:31], v[30:31], v[154:155]
	v_add_f64 v[129:130], v[129:130], v[156:157]
	v_fma_f64 v[142:143], v[85:86], s[34:35], -v[131:132]
	v_fma_f64 v[146:147], v[81:82], s[34:35], v[144:145]
	s_mov_b32 s47, 0x3fe58eea
	s_mov_b32 s46, s38
	v_add_f64 v[12:13], v[26:27], v[12:13]
	v_add_f64 v[14:15], v[28:29], v[14:15]
	v_fma_f64 v[26:27], v[40:41], s[6:7], v[137:138]
	v_fma_f64 v[28:29], v[44:45], s[6:7], -v[139:140]
	v_add_f64 v[30:31], v[142:143], v[30:31]
	v_add_f64 v[129:130], v[146:147], v[129:130]
	v_fma_f64 v[137:138], v[68:69], s[8:9], -v[148:149]
	v_fma_f64 v[139:140], v[66:67], s[8:9], v[150:151]
	v_mul_f64 v[142:143], v[70:71], s[46:47]
	v_mul_f64 v[146:147], v[64:65], s[46:47]
	v_add_f64 v[12:13], v[26:27], v[12:13]
	v_add_f64 v[14:15], v[28:29], v[14:15]
	v_fma_f64 v[26:27], v[38:39], s[20:21], v[133:134]
	v_fma_f64 v[28:29], v[36:37], s[20:21], -v[135:136]
	v_add_f64 v[30:31], v[137:138], v[30:31]
	v_add_f64 v[129:130], v[139:140], v[129:130]
	v_fma_f64 v[133:134], v[60:61], s[16:17], -v[142:143]
	v_fma_f64 v[135:136], v[56:57], s[16:17], v[146:147]
	v_mul_f64 v[137:138], v[62:63], s[26:27]
	v_mul_f64 v[139:140], v[58:59], s[26:27]
	;; [unrolled: 10-line block ×8, first 2 shown]
	v_add_f64 v[24:25], v[133:134], v[24:25]
	v_add_f64 v[131:132], v[135:136], v[131:132]
	v_fma_f64 v[133:134], v[38:39], s[28:29], v[144:145]
	v_fma_f64 v[135:136], v[36:37], s[28:29], -v[152:153]
	v_add_f64 v[137:138], v[137:138], v[26:27]
	v_add_f64 v[28:29], v[139:140], v[28:29]
	v_fma_f64 v[139:140], v[60:61], s[6:7], -v[142:143]
	v_fma_f64 v[148:149], v[93:94], s[34:35], v[148:149]
	v_fma_f64 v[150:151], v[89:90], s[34:35], -v[150:151]
	v_fma_f64 v[144:145], v[56:57], s[6:7], v[146:147]
	v_add_f64 v[24:25], v[133:134], v[24:25]
	v_add_f64 v[26:27], v[135:136], v[131:132]
	v_mul_f64 v[131:132], v[62:63], s[24:25]
	v_mul_f64 v[133:134], v[58:59], s[24:25]
	v_add_f64 v[135:136], v[139:140], v[137:138]
	v_add_f64 v[137:138], v[148:149], v[172:173]
	;; [unrolled: 1-line block ×3, first 2 shown]
	v_fma_f64 v[30:31], v[85:86], s[8:9], v[30:31]
	v_fma_f64 v[129:130], v[81:82], s[8:9], -v[129:130]
	s_mov_b32 s55, 0x3fe9895b
	s_mov_b32 s54, s22
	v_add_f64 v[28:29], v[144:145], v[28:29]
	v_fma_f64 v[144:145], v[48:49], s[28:29], -v[131:132]
	v_fma_f64 v[148:149], v[50:51], s[28:29], v[133:134]
	v_mul_f64 v[150:151], v[54:55], s[54:55]
	v_mul_f64 v[152:153], v[52:53], s[54:55]
	v_add_f64 v[30:31], v[30:31], v[137:138]
	v_add_f64 v[129:130], v[129:130], v[139:140]
	v_fma_f64 v[137:138], v[68:69], s[20:21], v[154:155]
	v_fma_f64 v[139:140], v[66:67], s[20:21], -v[156:157]
	v_add_f64 v[135:136], v[144:145], v[135:136]
	v_add_f64 v[28:29], v[148:149], v[28:29]
	v_fma_f64 v[144:145], v[40:41], s[18:19], -v[150:151]
	v_fma_f64 v[148:149], v[44:45], s[18:19], v[152:153]
	v_mul_f64 v[154:155], v[46:47], s[46:47]
	v_mul_f64 v[156:157], v[42:43], s[46:47]
	v_add_f64 v[30:31], v[137:138], v[30:31]
	v_add_f64 v[129:130], v[139:140], v[129:130]
	v_fma_f64 v[137:138], v[60:61], s[6:7], v[142:143]
	v_fma_f64 v[139:140], v[56:57], s[6:7], -v[146:147]
	v_add_f64 v[135:136], v[144:145], v[135:136]
	;; [unrolled: 10-line block ×5, first 2 shown]
	v_add_f64 v[139:140], v[139:140], v[34:35]
	v_fma_f64 v[154:155], v[68:69], s[6:7], -v[150:151]
	v_fma_f64 v[156:157], v[66:67], s[6:7], v[152:153]
	v_fma_f64 v[146:147], v[93:94], s[28:29], v[146:147]
	v_fma_f64 v[148:149], v[89:90], s[28:29], -v[148:149]
	v_add_f64 v[32:33], v[133:134], v[131:132]
	v_add_f64 v[34:35], v[137:138], v[129:130]
	v_mul_f64 v[129:130], v[70:71], s[36:37]
	v_mul_f64 v[131:132], v[64:65], s[36:37]
	s_mov_b32 s51, 0x3fefdd0d
	s_mov_b32 s50, s30
	v_add_f64 v[133:134], v[154:155], v[135:136]
	v_add_f64 v[135:136], v[156:157], v[139:140]
	;; [unrolled: 1-line block ×4, first 2 shown]
	v_fma_f64 v[137:138], v[85:86], s[16:17], v[142:143]
	v_fma_f64 v[139:140], v[81:82], s[16:17], -v[144:145]
	v_fma_f64 v[142:143], v[60:61], s[34:35], -v[129:130]
	v_fma_f64 v[144:145], v[56:57], s[34:35], v[131:132]
	v_mul_f64 v[146:147], v[62:63], s[50:51]
	v_mul_f64 v[148:149], v[58:59], s[50:51]
	v_fma_f64 v[129:130], v[60:61], s[34:35], v[129:130]
	v_fma_f64 v[131:132], v[56:57], s[34:35], -v[131:132]
	v_add_f64 v[125:126], v[137:138], v[125:126]
	v_add_f64 v[127:128], v[139:140], v[127:128]
	v_fma_f64 v[137:138], v[68:69], s[6:7], v[150:151]
	v_fma_f64 v[139:140], v[66:67], s[6:7], -v[152:153]
	v_add_f64 v[133:134], v[142:143], v[133:134]
	v_add_f64 v[135:136], v[144:145], v[135:136]
	v_fma_f64 v[142:143], v[48:49], s[2:3], -v[146:147]
	v_fma_f64 v[144:145], v[50:51], s[2:3], v[148:149]
	v_mul_f64 v[150:151], v[54:55], s[26:27]
	v_mul_f64 v[152:153], v[52:53], s[26:27]
	v_add_f64 v[125:126], v[137:138], v[125:126]
	v_add_f64 v[127:128], v[139:140], v[127:128]
	v_mul_f64 v[154:155], v[87:88], s[24:25]
	v_mul_f64 v[156:157], v[83:84], s[24:25]
	v_add_f64 v[133:134], v[142:143], v[133:134]
	v_add_f64 v[135:136], v[144:145], v[135:136]
	v_fma_f64 v[137:138], v[40:41], s[20:21], -v[150:151]
	v_fma_f64 v[139:140], v[44:45], s[20:21], v[152:153]
	v_mul_f64 v[142:143], v[46:47], s[22:23]
	v_mul_f64 v[144:145], v[42:43], s[22:23]
	v_add_f64 v[125:126], v[129:130], v[125:126]
	v_add_f64 v[127:128], v[131:132], v[127:128]
	v_fma_f64 v[129:130], v[48:49], s[2:3], v[146:147]
	v_fma_f64 v[131:132], v[50:51], s[2:3], -v[148:149]
	v_add_f64 v[133:134], v[137:138], v[133:134]
	v_add_f64 v[135:136], v[139:140], v[135:136]
	v_fma_f64 v[137:138], v[38:39], s[18:19], -v[142:143]
	v_fma_f64 v[139:140], v[36:37], s[18:19], v[144:145]
	v_mul_f64 v[146:147], v[99:100], s[48:49]
	v_mul_f64 v[148:149], v[97:98], s[48:49]
	v_add_f64 v[129:130], v[129:130], v[125:126]
	v_add_f64 v[131:132], v[131:132], v[127:128]
	v_fma_f64 v[150:151], v[40:41], s[20:21], v[150:151]
	v_fma_f64 v[152:153], v[44:45], s[20:21], -v[152:153]
	;; [unrolled: 10-line block ×5, first 2 shown]
	v_add_f64 v[133:134], v[142:143], v[133:134]
	v_add_f64 v[135:136], v[144:145], v[135:136]
	v_fma_f64 v[137:138], v[60:61], s[2:3], -v[146:147]
	v_fma_f64 v[139:140], v[56:57], s[2:3], v[148:149]
	v_mul_f64 v[142:143], v[62:63], s[38:39]
	v_mul_f64 v[144:145], v[58:59], s[38:39]
	;; [unrolled: 1-line block ×4, first 2 shown]
	v_add_f64 v[117:118], v[129:130], v[117:118]
	v_add_f64 v[119:120], v[131:132], v[119:120]
	v_add_f64 v[133:134], v[137:138], v[133:134]
	v_add_f64 v[135:136], v[139:140], v[135:136]
	v_fma_f64 v[137:138], v[48:49], s[16:17], -v[142:143]
	v_fma_f64 v[139:140], v[50:51], s[16:17], v[144:145]
	v_fma_f64 v[129:130], v[68:69], s[28:29], v[154:155]
	v_fma_f64 v[131:132], v[66:67], s[28:29], -v[156:157]
	v_mul_f64 v[95:96], v[95:96], s[24:25]
	v_mul_f64 v[91:92], v[91:92], s[24:25]
	s_movk_i32 s33, 0xf1
	v_add_f64 v[133:134], v[137:138], v[133:134]
	v_add_f64 v[135:136], v[139:140], v[135:136]
	v_fma_f64 v[137:138], v[40:41], s[34:35], -v[150:151]
	v_fma_f64 v[139:140], v[44:45], s[34:35], v[152:153]
	v_add_f64 v[117:118], v[129:130], v[117:118]
	v_add_f64 v[119:120], v[131:132], v[119:120]
	v_fma_f64 v[129:130], v[60:61], s[2:3], v[146:147]
	v_fma_f64 v[131:132], v[56:57], s[2:3], -v[148:149]
	v_mul_f64 v[146:147], v[46:47], s[40:41]
	v_mul_f64 v[148:149], v[42:43], s[40:41]
	v_add_f64 v[133:134], v[137:138], v[133:134]
	v_add_f64 v[135:136], v[139:140], v[135:136]
	v_mul_f64 v[137:138], v[99:100], s[40:41]
	v_mul_f64 v[139:140], v[97:98], s[40:41]
	v_add_f64 v[117:118], v[129:130], v[117:118]
	v_add_f64 v[119:120], v[131:132], v[119:120]
	v_fma_f64 v[129:130], v[48:49], s[16:17], v[142:143]
	v_fma_f64 v[131:132], v[50:51], s[16:17], -v[144:145]
	v_fma_f64 v[142:143], v[38:39], s[6:7], -v[146:147]
	v_fma_f64 v[144:145], v[36:37], s[6:7], v[148:149]
	v_fma_f64 v[154:155], v[93:94], s[6:7], -v[137:138]
	v_fma_f64 v[156:157], v[89:90], s[6:7], v[139:140]
	v_fma_f64 v[150:151], v[40:41], s[34:35], v[150:151]
	v_fma_f64 v[152:153], v[44:45], s[34:35], -v[152:153]
	v_add_f64 v[129:130], v[129:130], v[117:118]
	v_add_f64 v[131:132], v[131:132], v[119:120]
	;; [unrolled: 1-line block ×6, first 2 shown]
	v_fma_f64 v[133:134], v[85:86], s[2:3], -v[158:159]
	v_fma_f64 v[135:136], v[81:82], s[2:3], v[160:161]
	v_mul_f64 v[142:143], v[87:88], s[54:55]
	v_mul_f64 v[144:145], v[83:84], s[54:55]
	v_fma_f64 v[137:138], v[93:94], s[6:7], v[137:138]
	v_fma_f64 v[139:140], v[89:90], s[6:7], -v[139:140]
	v_add_f64 v[129:130], v[150:151], v[129:130]
	v_add_f64 v[131:132], v[152:153], v[131:132]
	;; [unrolled: 1-line block ×4, first 2 shown]
	v_fma_f64 v[133:134], v[68:69], s[18:19], -v[142:143]
	v_fma_f64 v[135:136], v[66:67], s[18:19], v[144:145]
	v_mul_f64 v[150:151], v[70:71], s[26:27]
	v_mul_f64 v[152:153], v[64:65], s[26:27]
	v_add_f64 v[109:110], v[137:138], v[109:110]
	v_add_f64 v[111:112], v[139:140], v[111:112]
	v_fma_f64 v[137:138], v[85:86], s[2:3], v[158:159]
	v_fma_f64 v[139:140], v[81:82], s[2:3], -v[160:161]
	v_add_f64 v[113:114], v[133:134], v[113:114]
	v_add_f64 v[115:116], v[135:136], v[115:116]
	v_fma_f64 v[133:134], v[60:61], s[20:21], -v[150:151]
	v_fma_f64 v[135:136], v[56:57], s[20:21], v[152:153]
	v_mul_f64 v[154:155], v[62:63], s[36:37]
	v_mul_f64 v[156:157], v[58:59], s[36:37]
	v_add_f64 v[109:110], v[137:138], v[109:110]
	v_add_f64 v[111:112], v[139:140], v[111:112]
	v_fma_f64 v[137:138], v[68:69], s[18:19], v[142:143]
	v_fma_f64 v[139:140], v[66:67], s[18:19], -v[144:145]
	v_fma_f64 v[146:147], v[38:39], s[6:7], v[146:147]
	v_fma_f64 v[148:149], v[36:37], s[6:7], -v[148:149]
	v_add_f64 v[113:114], v[133:134], v[113:114]
	v_add_f64 v[115:116], v[135:136], v[115:116]
	v_fma_f64 v[133:134], v[48:49], s[34:35], -v[154:155]
	v_fma_f64 v[135:136], v[50:51], s[34:35], v[156:157]
	v_mul_f64 v[144:145], v[52:53], s[46:47]
	v_add_f64 v[137:138], v[137:138], v[109:110]
	v_add_f64 v[111:112], v[139:140], v[111:112]
	v_fma_f64 v[139:140], v[60:61], s[20:21], v[150:151]
	v_fma_f64 v[150:151], v[56:57], s[20:21], -v[152:153]
	v_mul_f64 v[99:100], v[99:100], s[44:45]
	v_mul_f64 v[97:98], v[97:98], s[44:45]
	v_add_f64 v[109:110], v[146:147], v[129:130]
	v_add_f64 v[113:114], v[133:134], v[113:114]
	v_add_f64 v[115:116], v[135:136], v[115:116]
	v_fma_f64 v[133:134], v[44:45], s[16:17], v[144:145]
	v_add_f64 v[135:136], v[139:140], v[137:138]
	v_add_f64 v[137:138], v[150:151], v[111:112]
	v_fma_f64 v[146:147], v[93:94], s[20:21], -v[99:100]
	v_add_f64 v[111:112], v[148:149], v[131:132]
	v_fma_f64 v[131:132], v[89:90], s[20:21], v[97:98]
	v_fma_f64 v[93:94], v[93:94], s[20:21], v[99:100]
	v_fma_f64 v[89:90], v[89:90], s[20:21], -v[97:98]
	v_add_f64 v[115:116], v[133:134], v[115:116]
	v_fma_f64 v[133:134], v[85:86], s[28:29], -v[95:96]
	v_mul_f64 v[87:88], v[87:88], s[46:47]
	v_add_f64 v[107:108], v[146:147], v[107:108]
	v_fma_f64 v[97:98], v[81:82], s[28:29], v[91:92]
	v_add_f64 v[103:104], v[131:132], v[103:104]
	v_add_f64 v[93:94], v[93:94], v[105:106]
	v_fma_f64 v[85:86], v[85:86], s[28:29], v[95:96]
	v_mul_f64 v[83:84], v[83:84], s[46:47]
	v_add_f64 v[89:90], v[89:90], v[101:102]
	v_fma_f64 v[81:82], v[81:82], s[28:29], -v[91:92]
	v_add_f64 v[107:108], v[133:134], v[107:108]
	v_fma_f64 v[105:106], v[68:69], s[16:17], -v[87:88]
	v_add_f64 v[91:92], v[97:98], v[103:104]
	v_mul_f64 v[70:71], v[70:71], s[22:23]
	v_add_f64 v[85:86], v[85:86], v[93:94]
	v_fma_f64 v[93:94], v[66:67], s[16:17], v[83:84]
	v_fma_f64 v[68:69], v[68:69], s[16:17], v[87:88]
	v_mul_f64 v[64:65], v[64:65], s[22:23]
	v_add_f64 v[81:82], v[81:82], v[89:90]
	v_fma_f64 v[66:67], v[66:67], s[16:17], -v[83:84]
	v_mul_f64 v[142:143], v[54:55], s[46:47]
	v_add_f64 v[97:98], v[105:106], v[107:108]
	v_mul_f64 v[62:63], v[62:63], s[40:41]
	v_add_f64 v[89:90], v[93:94], v[91:92]
	v_fma_f64 v[91:92], v[60:61], s[18:19], -v[70:71]
	v_add_f64 v[68:69], v[68:69], v[85:86]
	v_fma_f64 v[85:86], v[56:57], s[18:19], v[64:65]
	v_mul_f64 v[58:59], v[58:59], s[40:41]
	v_add_f64 v[66:67], v[66:67], v[81:82]
	v_fma_f64 v[60:61], v[60:61], s[18:19], v[70:71]
	v_fma_f64 v[56:57], v[56:57], s[18:19], -v[64:65]
	v_fma_f64 v[129:130], v[40:41], s[16:17], -v[142:143]
	v_fma_f64 v[139:140], v[48:49], s[34:35], v[154:155]
	v_fma_f64 v[150:151], v[50:51], s[34:35], -v[156:157]
	v_add_f64 v[64:65], v[91:92], v[97:98]
	v_add_f64 v[85:86], v[85:86], v[89:90]
	v_fma_f64 v[89:90], v[48:49], s[6:7], -v[62:63]
	v_fma_f64 v[91:92], v[50:51], s[6:7], v[58:59]
	v_mul_f64 v[54:55], v[54:55], s[14:15]
	v_mul_f64 v[52:53], v[52:53], s[14:15]
	v_add_f64 v[60:61], v[60:61], v[68:69]
	v_add_f64 v[56:57], v[56:57], v[66:67]
	v_fma_f64 v[48:49], v[48:49], s[6:7], v[62:63]
	v_fma_f64 v[50:51], v[50:51], s[6:7], -v[58:59]
	v_add_f64 v[113:114], v[129:130], v[113:114]
	v_add_f64 v[129:130], v[139:140], v[135:136]
	v_fma_f64 v[99:100], v[40:41], s[16:17], v[142:143]
	v_mul_f64 v[87:88], v[46:47], s[14:15]
	v_mul_f64 v[83:84], v[42:43], s[14:15]
	v_add_f64 v[135:136], v[150:151], v[137:138]
	v_fma_f64 v[137:138], v[44:45], s[16:17], -v[144:145]
	v_add_f64 v[58:59], v[89:90], v[64:65]
	v_add_f64 v[62:63], v[91:92], v[85:86]
	v_fma_f64 v[64:65], v[40:41], s[8:9], -v[54:55]
	v_fma_f64 v[66:67], v[44:45], s[8:9], v[52:53]
	v_mul_f64 v[46:47], v[46:47], s[50:51]
	v_mul_f64 v[42:43], v[42:43], s[50:51]
	v_add_f64 v[48:49], v[48:49], v[60:61]
	v_add_f64 v[50:51], v[50:51], v[56:57]
	v_fma_f64 v[40:41], v[40:41], s[8:9], v[54:55]
	v_fma_f64 v[44:45], v[44:45], s[8:9], -v[52:53]
	v_add_f64 v[95:96], v[99:100], v[129:130]
	v_fma_f64 v[81:82], v[38:39], s[8:9], -v[87:88]
	v_fma_f64 v[70:71], v[36:37], s[8:9], v[83:84]
	v_fma_f64 v[52:53], v[38:39], s[8:9], v[87:88]
	v_add_f64 v[99:100], v[137:138], v[135:136]
	v_fma_f64 v[54:55], v[36:37], s[8:9], -v[83:84]
	v_add_f64 v[56:57], v[64:65], v[58:59]
	v_add_f64 v[58:59], v[66:67], v[62:63]
	v_fma_f64 v[60:61], v[38:39], s[2:3], -v[46:47]
	v_fma_f64 v[62:63], v[36:37], s[2:3], v[42:43]
	v_add_f64 v[48:49], v[40:41], v[48:49]
	v_add_f64 v[50:51], v[44:45], v[50:51]
	v_fma_f64 v[64:65], v[38:39], s[2:3], v[46:47]
	v_fma_f64 v[66:67], v[36:37], s[2:3], -v[42:43]
	v_add_f64 v[36:37], v[81:82], v[113:114]
	v_add_f64 v[38:39], v[70:71], v[115:116]
	;; [unrolled: 1-line block ×3, first 2 shown]
	v_lshl_add_u32 v52, v74, 8, v141
	v_add_f64 v[42:43], v[54:55], v[99:100]
	v_add_f64 v[44:45], v[60:61], v[56:57]
	;; [unrolled: 1-line block ×5, first 2 shown]
	s_barrier
	ds_write_b128 v52, v[4:7]
	ds_write_b128 v52, v[0:3] offset:16
	ds_write_b128 v52, v[16:19] offset:32
	;; [unrolled: 1-line block ×16, first 2 shown]
	v_mul_lo_u16_sdwa v0, v74, s33 dst_sel:DWORD dst_unused:UNUSED_PAD src0_sel:BYTE_0 src1_sel:DWORD
	v_lshrrev_b16_e32 v75, 12, v0
	v_mul_lo_u16_e32 v0, 17, v75
	v_sub_u16_e32 v79, v74, v0
	v_mov_b32_e32 v0, 8
	v_lshlrev_b32_sdwa v95, v0, v79 dst_sel:DWORD dst_unused:UNUSED_PAD src0_sel:DWORD src1_sel:BYTE_0
	s_waitcnt lgkmcnt(0)
	s_barrier
	global_load_dwordx4 v[0:3], v95, s[12:13]
	global_load_dwordx4 v[4:7], v95, s[12:13] offset:16
	global_load_dwordx4 v[8:11], v95, s[12:13] offset:32
	;; [unrolled: 1-line block ×9, first 2 shown]
	v_lshl_add_u32 v142, v78, 4, 0
	ds_read_b128 v[28:31], v142
	ds_read_b128 v[44:47], v141 offset:26112
	global_load_dwordx4 v[48:51], v95, s[12:13] offset:160
	global_load_dwordx4 v[56:59], v95, s[12:13] offset:176
	v_lshl_add_u32 v143, v80, 4, 0
	ds_read_b128 v[52:55], v143
	global_load_dwordx4 v[64:67], v95, s[12:13] offset:192
	ds_read_b128 v[81:84], v141 offset:8160
	s_waitcnt vmcnt(12) lgkmcnt(3)
	v_mul_f64 v[60:61], v[30:31], v[2:3]
	v_mul_f64 v[2:3], v[28:29], v[2:3]
	s_waitcnt vmcnt(11) lgkmcnt(1)
	v_mul_f64 v[70:71], v[54:55], v[6:7]
	v_mul_f64 v[6:7], v[52:53], v[6:7]
	;; [unrolled: 3-line block ×3, first 2 shown]
	v_fma_f64 v[68:69], v[28:29], v[0:1], -v[60:61]
	v_fma_f64 v[85:86], v[30:31], v[0:1], v[2:3]
	ds_read_b128 v[60:63], v141 offset:4896
	ds_read_b128 v[0:3], v141
	ds_read_b128 v[28:31], v141 offset:6528
	v_fma_f64 v[89:90], v[52:53], v[4:5], -v[70:71]
	v_fma_f64 v[91:92], v[54:55], v[4:5], v[6:7]
	s_waitcnt lgkmcnt(2)
	v_mul_f64 v[87:88], v[62:63], v[10:11]
	v_mul_f64 v[10:11], v[60:61], v[10:11]
	s_waitcnt lgkmcnt(0)
	v_mul_f64 v[52:53], v[30:31], v[14:15]
	v_add_f64 v[54:55], v[0:1], v[68:69]
	v_add_f64 v[70:71], v[2:3], v[85:86]
	global_load_dwordx4 v[4:7], v95, s[12:13] offset:208
	v_mul_f64 v[14:15], v[28:29], v[14:15]
	v_fma_f64 v[87:88], v[60:61], v[8:9], -v[87:88]
	v_fma_f64 v[107:108], v[62:63], v[8:9], v[10:11]
	v_fma_f64 v[127:128], v[28:29], v[12:13], -v[52:53]
	v_add_f64 v[28:29], v[54:55], v[89:90]
	v_add_f64 v[70:71], v[70:71], v[91:92]
	global_load_dwordx4 v[52:55], v95, s[12:13] offset:240
	global_load_dwordx4 v[60:63], v95, s[12:13] offset:224
	v_fma_f64 v[144:145], v[30:31], v[12:13], v[14:15]
	ds_read_b128 v[8:11], v141 offset:9792
	ds_read_b128 v[12:15], v141 offset:11424
	v_fma_f64 v[95:96], v[83:84], v[16:17], v[18:19]
	v_add_f64 v[28:29], v[28:29], v[87:88]
	v_add_f64 v[30:31], v[70:71], v[107:108]
	s_waitcnt vmcnt(10) lgkmcnt(1)
	v_mul_f64 v[97:98], v[10:11], v[22:23]
	v_fma_f64 v[70:71], v[81:82], v[16:17], -v[93:94]
	v_mul_f64 v[22:23], v[8:9], v[22:23]
	ds_read_b128 v[16:19], v141 offset:13056
	v_add_f64 v[28:29], v[28:29], v[127:128]
	v_add_f64 v[30:31], v[30:31], v[144:145]
	v_fma_f64 v[93:94], v[8:9], v[20:21], -v[97:98]
	s_waitcnt vmcnt(9) lgkmcnt(1)
	v_mul_f64 v[8:9], v[14:15], v[26:27]
	v_mul_f64 v[26:27], v[12:13], v[26:27]
	v_fma_f64 v[97:98], v[10:11], v[20:21], v[22:23]
	ds_read_b128 v[20:23], v141 offset:14688
	s_waitcnt vmcnt(8) lgkmcnt(1)
	v_mul_f64 v[81:82], v[18:19], v[34:35]
	v_add_f64 v[10:11], v[28:29], v[70:71]
	v_add_f64 v[28:29], v[30:31], v[95:96]
	v_fma_f64 v[30:31], v[12:13], v[24:25], -v[8:9]
	v_fma_f64 v[24:25], v[14:15], v[24:25], v[26:27]
	v_mul_f64 v[26:27], v[16:17], v[34:35]
	ds_read_b128 v[12:15], v141 offset:16320
	v_fma_f64 v[8:9], v[16:17], v[32:33], -v[81:82]
	v_add_f64 v[34:35], v[10:11], v[93:94]
	v_add_f64 v[28:29], v[28:29], v[97:98]
	s_waitcnt vmcnt(7) lgkmcnt(1)
	v_mul_f64 v[81:82], v[22:23], v[38:39]
	v_mul_f64 v[38:39], v[20:21], v[38:39]
	v_fma_f64 v[10:11], v[18:19], v[32:33], v[26:27]
	ds_read_b128 v[16:19], v141 offset:17952
	s_waitcnt vmcnt(6) lgkmcnt(1)
	v_mul_f64 v[83:84], v[14:15], v[42:43]
	v_add_f64 v[32:33], v[34:35], v[30:31]
	v_add_f64 v[34:35], v[28:29], v[24:25]
	v_fma_f64 v[26:27], v[20:21], v[36:37], -v[81:82]
	v_fma_f64 v[28:29], v[22:23], v[36:37], v[38:39]
	v_mul_f64 v[36:37], v[12:13], v[42:43]
	s_waitcnt vmcnt(5) lgkmcnt(0)
	v_mul_f64 v[38:39], v[18:19], v[50:51]
	v_mul_f64 v[42:43], v[16:17], v[50:51]
	v_fma_f64 v[117:118], v[12:13], v[40:41], -v[83:84]
	v_add_f64 v[32:33], v[32:33], v[8:9]
	v_add_f64 v[34:35], v[34:35], v[10:11]
	ds_read_b128 v[20:23], v141 offset:19584
	v_fma_f64 v[113:114], v[14:15], v[40:41], v[36:37]
	ds_read_b128 v[12:15], v141 offset:21216
	v_fma_f64 v[109:110], v[16:17], v[48:49], -v[38:39]
	s_waitcnt vmcnt(4) lgkmcnt(1)
	v_mul_f64 v[36:37], v[22:23], v[58:59]
	v_add_f64 v[32:33], v[32:33], v[26:27]
	v_add_f64 v[34:35], v[34:35], v[28:29]
	v_fma_f64 v[115:116], v[18:19], v[48:49], v[42:43]
	v_mul_f64 v[38:39], v[20:21], v[58:59]
	s_waitcnt vmcnt(3) lgkmcnt(0)
	v_mul_f64 v[40:41], v[12:13], v[66:67]
	ds_read_b128 v[16:19], v141 offset:22848
	v_fma_f64 v[99:100], v[20:21], v[56:57], -v[36:37]
	v_add_f64 v[32:33], v[32:33], v[117:118]
	v_add_f64 v[34:35], v[34:35], v[113:114]
	v_mul_f64 v[36:37], v[14:15], v[66:67]
	v_fma_f64 v[101:102], v[22:23], v[56:57], v[38:39]
	ds_read_b128 v[20:23], v141 offset:24480
	v_fma_f64 v[83:84], v[14:15], v[64:65], v[40:41]
	s_waitcnt vmcnt(0) lgkmcnt(0)
	s_barrier
	v_add_f64 v[32:33], v[32:33], v[109:110]
	v_add_f64 v[34:35], v[34:35], v[115:116]
	v_mul_f64 v[38:39], v[18:19], v[6:7]
	v_mul_f64 v[6:7], v[16:17], v[6:7]
	v_fma_f64 v[56:57], v[12:13], v[64:65], -v[36:37]
	v_add_f64 v[12:13], v[32:33], v[99:100]
	v_add_f64 v[14:15], v[34:35], v[101:102]
	v_fma_f64 v[50:51], v[16:17], v[4:5], -v[38:39]
	v_fma_f64 v[48:49], v[18:19], v[4:5], v[6:7]
	v_mul_f64 v[4:5], v[44:45], v[54:55]
	v_mul_f64 v[6:7], v[22:23], v[62:63]
	;; [unrolled: 1-line block ×4, first 2 shown]
	v_add_f64 v[12:13], v[12:13], v[56:57]
	v_add_f64 v[14:15], v[14:15], v[83:84]
	v_fma_f64 v[32:33], v[46:47], v[52:53], v[4:5]
	v_fma_f64 v[42:43], v[20:21], v[60:61], -v[6:7]
	v_fma_f64 v[40:41], v[22:23], v[60:61], v[16:17]
	v_add_f64 v[4:5], v[12:13], v[50:51]
	v_add_f64 v[6:7], v[14:15], v[48:49]
	v_fma_f64 v[12:13], v[44:45], v[52:53], -v[18:19]
	v_add_f64 v[14:15], v[85:86], -v[32:33]
	v_add_f64 v[22:23], v[85:86], v[32:33]
	v_add_f64 v[4:5], v[4:5], v[42:43]
	;; [unrolled: 1-line block ×4, first 2 shown]
	v_mul_f64 v[44:45], v[14:15], s[14:15]
	v_mul_f64 v[54:55], v[14:15], s[24:25]
	;; [unrolled: 1-line block ×4, first 2 shown]
	v_add_f64 v[4:5], v[4:5], v[12:13]
	v_add_f64 v[6:7], v[6:7], v[32:33]
	v_mul_f64 v[32:33], v[14:15], s[42:43]
	v_add_f64 v[12:13], v[68:69], -v[12:13]
	v_mul_f64 v[38:39], v[14:15], s[30:31]
	v_mul_f64 v[52:53], v[14:15], s[22:23]
	;; [unrolled: 1-line block ×3, first 2 shown]
	v_fma_f64 v[60:61], v[16:17], s[8:9], -v[44:45]
	v_fma_f64 v[62:63], v[16:17], s[8:9], v[44:45]
	v_fma_f64 v[85:86], v[16:17], s[28:29], -v[54:55]
	v_fma_f64 v[46:47], v[16:17], s[6:7], -v[32:33]
	v_mul_f64 v[44:45], v[12:13], s[26:27]
	v_mul_f64 v[66:67], v[12:13], s[38:39]
	v_fma_f64 v[146:147], v[16:17], s[28:29], v[54:55]
	v_mul_f64 v[54:55], v[12:13], s[42:43]
	v_mul_f64 v[81:82], v[12:13], s[14:15]
	v_fma_f64 v[34:35], v[16:17], s[20:21], -v[18:19]
	v_fma_f64 v[18:19], v[16:17], s[20:21], v[18:19]
	v_fma_f64 v[36:37], v[16:17], s[16:17], -v[20:21]
	v_fma_f64 v[20:21], v[16:17], s[16:17], v[20:21]
	v_fma_f64 v[32:33], v[16:17], s[6:7], v[32:33]
	v_fma_f64 v[58:59], v[16:17], s[2:3], -v[38:39]
	v_fma_f64 v[38:39], v[16:17], s[2:3], v[38:39]
	v_fma_f64 v[64:65], v[16:17], s[18:19], -v[52:53]
	;; [unrolled: 2-line block ×3, first 2 shown]
	v_fma_f64 v[150:151], v[16:17], s[34:35], v[14:15]
	v_fma_f64 v[14:15], v[22:23], s[20:21], v[44:45]
	v_fma_f64 v[16:17], v[22:23], s[20:21], -v[44:45]
	v_fma_f64 v[44:45], v[22:23], s[16:17], v[66:67]
	v_mul_f64 v[68:69], v[12:13], s[30:31]
	v_fma_f64 v[103:104], v[22:23], s[6:7], v[54:55]
	v_mul_f64 v[105:106], v[12:13], s[22:23]
	v_fma_f64 v[54:55], v[22:23], s[6:7], -v[54:55]
	v_fma_f64 v[125:126], v[22:23], s[8:9], v[81:82]
	v_add_f64 v[131:132], v[0:1], v[46:47]
	v_add_f64 v[46:47], v[91:92], -v[40:41]
	v_fma_f64 v[66:67], v[22:23], s[16:17], -v[66:67]
	v_mul_f64 v[111:112], v[12:13], s[24:25]
	v_mul_f64 v[12:13], v[12:13], s[36:37]
	v_fma_f64 v[123:124], v[22:23], s[2:3], v[68:69]
	v_fma_f64 v[81:82], v[22:23], s[8:9], -v[81:82]
	v_fma_f64 v[152:153], v[22:23], s[18:19], v[105:106]
	v_add_f64 v[162:163], v[0:1], v[34:35]
	v_add_f64 v[119:120], v[2:3], v[16:17]
	;; [unrolled: 1-line block ×6, first 2 shown]
	v_add_f64 v[44:45], v[89:90], -v[42:43]
	v_add_f64 v[42:43], v[89:90], v[42:43]
	v_mul_f64 v[125:126], v[46:47], s[38:39]
	v_add_f64 v[54:55], v[107:108], -v[48:49]
	v_fma_f64 v[68:69], v[22:23], s[2:3], -v[68:69]
	v_fma_f64 v[154:155], v[22:23], s[18:19], -v[105:106]
	v_fma_f64 v[156:157], v[22:23], s[28:29], v[111:112]
	v_fma_f64 v[160:161], v[22:23], s[34:35], v[12:13]
	v_fma_f64 v[121:122], v[22:23], s[34:35], -v[12:13]
	v_add_f64 v[164:165], v[2:3], v[14:15]
	v_add_f64 v[135:136], v[0:1], v[20:21]
	;; [unrolled: 1-line block ×9, first 2 shown]
	v_mul_f64 v[123:124], v[44:45], s[38:39]
	v_add_f64 v[81:82], v[0:1], v[52:53]
	v_add_f64 v[52:53], v[87:88], -v[50:51]
	v_fma_f64 v[58:59], v[42:43], s[16:17], -v[125:126]
	v_add_f64 v[50:51], v[87:88], v[50:51]
	v_mul_f64 v[152:153], v[54:55], s[42:43]
	v_add_f64 v[66:67], v[144:145], -v[83:84]
	v_fma_f64 v[158:159], v[22:23], s[28:29], -v[111:112]
	v_add_f64 v[111:112], v[0:1], v[18:19]
	v_add_f64 v[139:140], v[0:1], v[36:37]
	;; [unrolled: 1-line block ×7, first 2 shown]
	v_fma_f64 v[91:92], v[40:41], s[16:17], v[123:124]
	v_add_f64 v[48:49], v[107:108], v[48:49]
	v_mul_f64 v[154:155], v[52:53], s[42:43]
	v_add_f64 v[107:108], v[58:59], v[162:163]
	v_add_f64 v[60:61], v[127:128], -v[56:57]
	v_fma_f64 v[156:157], v[50:51], s[6:7], -v[152:153]
	v_add_f64 v[58:59], v[127:128], v[56:57]
	v_mul_f64 v[162:163], v[66:67], s[30:31]
	v_add_f64 v[87:88], v[95:96], -v[101:102]
	v_add_f64 v[22:23], v[0:1], v[64:65]
	v_add_f64 v[64:65], v[0:1], v[146:147]
	;; [unrolled: 1-line block ×4, first 2 shown]
	v_fma_f64 v[158:159], v[48:49], s[6:7], v[154:155]
	v_add_f64 v[56:57], v[144:145], v[83:84]
	v_mul_f64 v[144:145], v[60:61], s[30:31]
	v_add_f64 v[91:92], v[0:1], v[148:149]
	v_add_f64 v[127:128], v[156:157], v[107:108]
	v_add_f64 v[83:84], v[70:71], -v[99:100]
	v_fma_f64 v[148:149], v[58:59], s[2:3], -v[162:163]
	v_add_f64 v[70:71], v[70:71], v[99:100]
	v_mul_f64 v[156:157], v[87:88], s[14:15]
	v_add_f64 v[99:100], v[97:98], -v[115:116]
	v_add_f64 v[146:147], v[158:159], v[146:147]
	v_fma_f64 v[158:159], v[56:57], s[2:3], v[144:145]
	v_add_f64 v[95:96], v[95:96], v[101:102]
	v_mul_f64 v[164:165], v[83:84], s[14:15]
	v_add_f64 v[107:108], v[2:3], v[160:161]
	v_add_f64 v[127:128], v[148:149], v[127:128]
	v_add_f64 v[101:102], v[93:94], -v[109:110]
	v_fma_f64 v[148:149], v[70:71], s[8:9], -v[156:157]
	v_add_f64 v[93:94], v[93:94], v[109:110]
	v_mul_f64 v[160:161], v[99:100], s[22:23]
	v_add_f64 v[38:39], v[0:1], v[38:39]
	v_add_f64 v[85:86], v[0:1], v[85:86]
	;; [unrolled: 1-line block ×3, first 2 shown]
	v_fma_f64 v[158:159], v[95:96], s[8:9], v[164:165]
	v_add_f64 v[109:110], v[0:1], v[150:151]
	v_add_f64 v[97:98], v[97:98], v[115:116]
	v_mul_f64 v[0:1], v[101:102], s[22:23]
	v_fma_f64 v[125:126], v[42:43], s[16:17], v[125:126]
	v_add_f64 v[148:149], v[148:149], v[127:128]
	v_fma_f64 v[150:151], v[93:94], s[18:19], -v[160:161]
	v_fma_f64 v[123:124], v[40:41], s[16:17], -v[123:124]
	v_add_f64 v[127:128], v[2:3], v[121:122]
	v_add_f64 v[2:3], v[158:159], v[146:147]
	v_fma_f64 v[152:153], v[50:51], s[6:7], v[152:153]
	v_fma_f64 v[146:147], v[97:98], s[18:19], v[0:1]
	v_add_f64 v[125:126], v[125:126], v[111:112]
	v_add_f64 v[115:116], v[24:25], -v[113:114]
	v_add_f64 v[148:149], v[150:151], v[148:149]
	v_add_f64 v[119:120], v[123:124], v[119:120]
	v_fma_f64 v[150:151], v[48:49], s[6:7], -v[154:155]
	v_add_f64 v[121:122], v[30:31], -v[117:118]
	v_fma_f64 v[144:145], v[56:57], s[2:3], -v[144:145]
	v_add_f64 v[2:3], v[146:147], v[2:3]
	v_add_f64 v[146:147], v[152:153], v[125:126]
	v_fma_f64 v[152:153], v[58:59], s[2:3], v[162:163]
	v_add_f64 v[111:112], v[30:31], v[117:118]
	v_mul_f64 v[30:31], v[115:116], s[24:25]
	v_add_f64 v[150:151], v[150:151], v[119:120]
	v_add_f64 v[117:118], v[24:25], v[113:114]
	v_mul_f64 v[154:155], v[121:122], s[24:25]
	v_add_f64 v[123:124], v[10:11], -v[28:29]
	v_add_f64 v[125:126], v[8:9], -v[26:27]
	v_add_f64 v[146:147], v[152:153], v[146:147]
	v_fma_f64 v[152:153], v[70:71], s[8:9], v[156:157]
	v_add_f64 v[113:114], v[10:11], v[28:29]
	v_add_f64 v[119:120], v[8:9], v[26:27]
	;; [unrolled: 1-line block ×3, first 2 shown]
	v_fma_f64 v[26:27], v[95:96], s[8:9], -v[164:165]
	v_fma_f64 v[24:25], v[111:112], s[28:29], -v[30:31]
	v_fma_f64 v[156:157], v[117:118], s[28:29], v[154:155]
	v_mul_f64 v[8:9], v[123:124], s[36:37]
	v_mul_f64 v[28:29], v[125:126], s[36:37]
	v_add_f64 v[144:145], v[152:153], v[146:147]
	v_fma_f64 v[146:147], v[93:94], s[18:19], v[160:161]
	v_fma_f64 v[0:1], v[97:98], s[18:19], -v[0:1]
	v_add_f64 v[10:11], v[26:27], v[10:11]
	v_add_f64 v[24:25], v[24:25], v[148:149]
	;; [unrolled: 1-line block ×3, first 2 shown]
	v_fma_f64 v[148:149], v[119:120], s[34:35], -v[8:9]
	v_mul_f64 v[150:151], v[46:47], s[30:31]
	v_fma_f64 v[26:27], v[113:114], s[34:35], v[28:29]
	v_add_f64 v[144:145], v[146:147], v[144:145]
	v_fma_f64 v[30:31], v[111:112], s[28:29], v[30:31]
	v_mul_f64 v[146:147], v[44:45], s[30:31]
	v_add_f64 v[0:1], v[0:1], v[10:11]
	v_fma_f64 v[10:11], v[117:118], s[28:29], -v[154:155]
	v_add_f64 v[24:25], v[148:149], v[24:25]
	v_fma_f64 v[148:149], v[42:43], s[2:3], -v[150:151]
	v_mul_f64 v[152:153], v[54:55], s[22:23]
	v_add_f64 v[26:27], v[26:27], v[2:3]
	v_add_f64 v[2:3], v[30:31], v[144:145]
	v_fma_f64 v[30:31], v[40:41], s[2:3], v[146:147]
	v_mul_f64 v[144:145], v[52:53], s[22:23]
	v_add_f64 v[10:11], v[10:11], v[0:1]
	v_fma_f64 v[0:1], v[119:120], s[34:35], v[8:9]
	v_fma_f64 v[8:9], v[113:114], s[34:35], -v[28:29]
	v_add_f64 v[139:140], v[148:149], v[139:140]
	v_fma_f64 v[148:149], v[50:51], s[18:19], -v[152:153]
	v_mul_f64 v[154:155], v[66:67], s[36:37]
	v_add_f64 v[28:29], v[30:31], v[137:138]
	v_fma_f64 v[30:31], v[48:49], s[18:19], v[144:145]
	v_mul_f64 v[137:138], v[60:61], s[36:37]
	v_add_f64 v[0:1], v[0:1], v[2:3]
	v_add_f64 v[2:3], v[8:9], v[10:11]
	v_fma_f64 v[8:9], v[42:43], s[2:3], v[150:151]
	v_add_f64 v[139:140], v[148:149], v[139:140]
	v_fma_f64 v[148:149], v[58:59], s[34:35], -v[154:155]
	v_mul_f64 v[156:157], v[87:88], s[52:53]
	v_add_f64 v[10:11], v[30:31], v[28:29]
	v_fma_f64 v[28:29], v[56:57], s[34:35], v[137:138]
	v_mul_f64 v[30:31], v[83:84], s[52:53]
	v_fma_f64 v[146:147], v[40:41], s[2:3], -v[146:147]
	v_add_f64 v[8:9], v[8:9], v[135:136]
	v_fma_f64 v[135:136], v[50:51], s[18:19], v[152:153]
	v_add_f64 v[139:140], v[148:149], v[139:140]
	v_fma_f64 v[148:149], v[70:71], s[28:29], -v[156:157]
	v_mul_f64 v[150:151], v[99:100], s[48:49]
	v_add_f64 v[10:11], v[28:29], v[10:11]
	v_fma_f64 v[28:29], v[95:96], s[28:29], v[30:31]
	v_mul_f64 v[152:153], v[101:102], s[48:49]
	v_add_f64 v[133:134], v[146:147], v[133:134]
	v_fma_f64 v[144:145], v[48:49], s[18:19], -v[144:145]
	v_add_f64 v[8:9], v[135:136], v[8:9]
	v_fma_f64 v[135:136], v[58:59], s[34:35], v[154:155]
	v_add_f64 v[139:140], v[148:149], v[139:140]
	v_fma_f64 v[146:147], v[93:94], s[8:9], -v[150:151]
	v_add_f64 v[10:11], v[28:29], v[10:11]
	v_fma_f64 v[28:29], v[97:98], s[8:9], v[152:153]
	v_mul_f64 v[148:149], v[115:116], s[40:41]
	v_mul_f64 v[154:155], v[121:122], s[40:41]
	v_add_f64 v[133:134], v[144:145], v[133:134]
	v_fma_f64 v[137:138], v[56:57], s[34:35], -v[137:138]
	v_add_f64 v[8:9], v[135:136], v[8:9]
	v_fma_f64 v[135:136], v[70:71], s[28:29], v[156:157]
	v_add_f64 v[139:140], v[146:147], v[139:140]
	v_add_f64 v[10:11], v[28:29], v[10:11]
	v_fma_f64 v[28:29], v[111:112], s[6:7], -v[148:149]
	v_fma_f64 v[144:145], v[117:118], s[6:7], v[154:155]
	v_mul_f64 v[146:147], v[123:124], s[44:45]
	v_add_f64 v[133:134], v[137:138], v[133:134]
	v_fma_f64 v[30:31], v[95:96], s[28:29], -v[30:31]
	v_mul_f64 v[137:138], v[125:126], s[44:45]
	v_add_f64 v[8:9], v[135:136], v[8:9]
	v_fma_f64 v[135:136], v[93:94], s[8:9], v[150:151]
	v_add_f64 v[28:29], v[28:29], v[139:140]
	v_add_f64 v[10:11], v[144:145], v[10:11]
	v_fma_f64 v[139:140], v[119:120], s[20:21], -v[146:147]
	v_mul_f64 v[144:145], v[46:47], s[22:23]
	v_add_f64 v[30:31], v[30:31], v[133:134]
	v_fma_f64 v[133:134], v[97:98], s[8:9], -v[152:153]
	v_fma_f64 v[150:151], v[113:114], s[20:21], v[137:138]
	v_add_f64 v[8:9], v[135:136], v[8:9]
	v_fma_f64 v[135:136], v[111:112], s[6:7], v[148:149]
	v_mul_f64 v[148:149], v[44:45], s[22:23]
	v_add_f64 v[28:29], v[139:140], v[28:29]
	v_fma_f64 v[139:140], v[42:43], s[18:19], -v[144:145]
	v_mul_f64 v[152:153], v[54:55], s[56:57]
	v_add_f64 v[133:134], v[133:134], v[30:31]
	v_fma_f64 v[154:155], v[117:118], s[6:7], -v[154:155]
	v_add_f64 v[30:31], v[150:151], v[10:11]
	v_add_f64 v[8:9], v[135:136], v[8:9]
	v_fma_f64 v[10:11], v[40:41], s[18:19], v[148:149]
	v_mul_f64 v[135:136], v[52:53], s[56:57]
	v_add_f64 v[131:132], v[139:140], v[131:132]
	v_fma_f64 v[139:140], v[50:51], s[34:35], -v[152:153]
	v_mul_f64 v[150:151], v[66:67], s[48:49]
	v_add_f64 v[133:134], v[154:155], v[133:134]
	v_fma_f64 v[137:138], v[113:114], s[20:21], -v[137:138]
	v_mul_f64 v[156:157], v[60:61], s[48:49]
	v_add_f64 v[129:130], v[10:11], v[129:130]
	v_fma_f64 v[154:155], v[48:49], s[34:35], v[135:136]
	v_fma_f64 v[146:147], v[119:120], s[20:21], v[146:147]
	v_add_f64 v[131:132], v[139:140], v[131:132]
	v_fma_f64 v[139:140], v[58:59], s[8:9], -v[150:151]
	v_mul_f64 v[158:159], v[87:88], s[46:47]
	v_add_f64 v[10:11], v[137:138], v[133:134]
	v_fma_f64 v[133:134], v[42:43], s[18:19], v[144:145]
	v_fma_f64 v[137:138], v[56:57], s[8:9], v[156:157]
	v_add_f64 v[129:130], v[154:155], v[129:130]
	v_mul_f64 v[144:145], v[83:84], s[46:47]
	v_add_f64 v[8:9], v[146:147], v[8:9]
	v_add_f64 v[131:132], v[139:140], v[131:132]
	v_fma_f64 v[139:140], v[70:71], s[16:17], -v[158:159]
	v_fma_f64 v[146:147], v[40:41], s[18:19], -v[148:149]
	v_mul_f64 v[148:149], v[99:100], s[26:27]
	v_add_f64 v[34:35], v[133:134], v[34:35]
	v_fma_f64 v[133:134], v[50:51], s[34:35], v[152:153]
	v_add_f64 v[129:130], v[137:138], v[129:130]
	v_fma_f64 v[137:138], v[95:96], s[16:17], v[144:145]
	v_mul_f64 v[152:153], v[101:102], s[26:27]
	v_add_f64 v[131:132], v[139:140], v[131:132]
	v_add_f64 v[32:33], v[146:147], v[32:33]
	v_fma_f64 v[135:136], v[48:49], s[34:35], -v[135:136]
	v_fma_f64 v[139:140], v[93:94], s[20:21], -v[148:149]
	v_add_f64 v[34:35], v[133:134], v[34:35]
	v_fma_f64 v[133:134], v[58:59], s[8:9], v[150:151]
	v_add_f64 v[129:130], v[137:138], v[129:130]
	v_fma_f64 v[137:138], v[97:98], s[20:21], v[152:153]
	v_mul_f64 v[146:147], v[115:116], s[30:31]
	v_mul_f64 v[150:151], v[121:122], s[30:31]
	v_add_f64 v[32:33], v[135:136], v[32:33]
	v_fma_f64 v[135:136], v[56:57], s[8:9], -v[156:157]
	v_add_f64 v[131:132], v[139:140], v[131:132]
	v_add_f64 v[34:35], v[133:134], v[34:35]
	v_fma_f64 v[133:134], v[70:71], s[16:17], v[158:159]
	v_add_f64 v[129:130], v[137:138], v[129:130]
	v_fma_f64 v[137:138], v[111:112], s[2:3], -v[146:147]
	v_fma_f64 v[139:140], v[117:118], s[2:3], v[150:151]
	v_mul_f64 v[154:155], v[123:124], s[24:25]
	v_add_f64 v[32:33], v[135:136], v[32:33]
	v_fma_f64 v[135:136], v[95:96], s[16:17], -v[144:145]
	v_mul_f64 v[144:145], v[125:126], s[24:25]
	v_add_f64 v[34:35], v[133:134], v[34:35]
	v_fma_f64 v[133:134], v[93:94], s[20:21], v[148:149]
	v_add_f64 v[131:132], v[137:138], v[131:132]
	v_add_f64 v[129:130], v[139:140], v[129:130]
	v_fma_f64 v[137:138], v[119:120], s[28:29], -v[154:155]
	v_mul_f64 v[139:140], v[46:47], s[36:37]
	v_add_f64 v[135:136], v[135:136], v[32:33]
	v_fma_f64 v[148:149], v[97:98], s[20:21], -v[152:153]
	v_fma_f64 v[152:153], v[113:114], s[28:29], v[144:145]
	v_add_f64 v[133:134], v[133:134], v[34:35]
	v_fma_f64 v[146:147], v[111:112], s[2:3], v[146:147]
	v_mul_f64 v[156:157], v[44:45], s[36:37]
	v_add_f64 v[32:33], v[137:138], v[131:132]
	v_fma_f64 v[131:132], v[42:43], s[34:35], -v[139:140]
	v_mul_f64 v[137:138], v[54:55], s[48:49]
	v_add_f64 v[135:136], v[148:149], v[135:136]
	v_fma_f64 v[148:149], v[117:118], s[2:3], -v[150:151]
	v_add_f64 v[34:35], v[152:153], v[129:130]
	v_add_f64 v[129:130], v[146:147], v[133:134]
	v_fma_f64 v[133:134], v[40:41], s[34:35], v[156:157]
	v_mul_f64 v[146:147], v[52:53], s[48:49]
	v_add_f64 v[14:15], v[131:132], v[14:15]
	v_fma_f64 v[131:132], v[50:51], s[8:9], -v[137:138]
	v_mul_f64 v[150:151], v[66:67], s[44:45]
	v_add_f64 v[135:136], v[148:149], v[135:136]
	v_fma_f64 v[148:149], v[119:120], s[28:29], v[154:155]
	v_fma_f64 v[144:145], v[113:114], s[28:29], -v[144:145]
	v_add_f64 v[133:134], v[133:134], v[12:13]
	v_fma_f64 v[152:153], v[48:49], s[8:9], v[146:147]
	v_mul_f64 v[154:155], v[60:61], s[44:45]
	v_add_f64 v[131:132], v[131:132], v[14:15]
	v_fma_f64 v[158:159], v[58:59], s[20:21], -v[150:151]
	v_mul_f64 v[160:161], v[87:88], s[42:43]
	v_add_f64 v[12:13], v[148:149], v[129:130]
	v_add_f64 v[14:15], v[144:145], v[135:136]
	v_fma_f64 v[129:130], v[42:43], s[34:35], v[139:140]
	v_add_f64 v[133:134], v[152:153], v[133:134]
	v_fma_f64 v[135:136], v[56:57], s[20:21], v[154:155]
	v_mul_f64 v[139:140], v[83:84], s[42:43]
	v_add_f64 v[131:132], v[158:159], v[131:132]
	v_fma_f64 v[144:145], v[70:71], s[6:7], -v[160:161]
	v_fma_f64 v[148:149], v[40:41], s[34:35], -v[156:157]
	v_mul_f64 v[152:153], v[99:100], s[24:25]
	v_add_f64 v[38:39], v[129:130], v[38:39]
	v_fma_f64 v[129:130], v[50:51], s[8:9], v[137:138]
	v_add_f64 v[133:134], v[135:136], v[133:134]
	v_fma_f64 v[135:136], v[95:96], s[6:7], v[139:140]
	v_mul_f64 v[137:138], v[101:102], s[24:25]
	v_add_f64 v[131:132], v[144:145], v[131:132]
	v_add_f64 v[36:37], v[148:149], v[36:37]
	v_fma_f64 v[144:145], v[48:49], s[8:9], -v[146:147]
	v_fma_f64 v[146:147], v[93:94], s[28:29], -v[152:153]
	v_add_f64 v[38:39], v[129:130], v[38:39]
	v_fma_f64 v[129:130], v[58:59], s[20:21], v[150:151]
	v_add_f64 v[133:134], v[135:136], v[133:134]
	v_fma_f64 v[135:136], v[97:98], s[28:29], v[137:138]
	v_mul_f64 v[148:149], v[115:116], s[54:55]
	v_mul_f64 v[150:151], v[121:122], s[54:55]
	v_add_f64 v[36:37], v[144:145], v[36:37]
	v_fma_f64 v[144:145], v[56:57], s[20:21], -v[154:155]
	v_add_f64 v[131:132], v[146:147], v[131:132]
	v_add_f64 v[38:39], v[129:130], v[38:39]
	v_fma_f64 v[129:130], v[70:71], s[6:7], v[160:161]
	v_add_f64 v[133:134], v[135:136], v[133:134]
	v_fma_f64 v[135:136], v[111:112], s[18:19], -v[148:149]
	v_fma_f64 v[146:147], v[117:118], s[18:19], v[150:151]
	v_mul_f64 v[154:155], v[123:124], s[46:47]
	v_add_f64 v[36:37], v[144:145], v[36:37]
	v_fma_f64 v[139:140], v[95:96], s[6:7], -v[139:140]
	v_mul_f64 v[144:145], v[125:126], s[46:47]
	v_add_f64 v[38:39], v[129:130], v[38:39]
	v_fma_f64 v[129:130], v[93:94], s[28:29], v[152:153]
	v_add_f64 v[131:132], v[135:136], v[131:132]
	v_add_f64 v[133:134], v[146:147], v[133:134]
	v_fma_f64 v[135:136], v[119:120], s[16:17], -v[154:155]
	v_mul_f64 v[146:147], v[46:47], s[52:53]
	v_add_f64 v[139:140], v[139:140], v[36:37]
	v_fma_f64 v[137:138], v[97:98], s[28:29], -v[137:138]
	v_fma_f64 v[152:153], v[113:114], s[16:17], v[144:145]
	v_add_f64 v[129:130], v[129:130], v[38:39]
	v_fma_f64 v[148:149], v[111:112], s[18:19], v[148:149]
	v_mul_f64 v[156:157], v[44:45], s[52:53]
	v_add_f64 v[36:37], v[135:136], v[131:132]
	v_fma_f64 v[131:132], v[42:43], s[28:29], -v[146:147]
	v_mul_f64 v[135:136], v[54:55], s[46:47]
	v_add_f64 v[137:138], v[137:138], v[139:140]
	v_fma_f64 v[139:140], v[117:118], s[18:19], -v[150:151]
	v_add_f64 v[38:39], v[152:153], v[133:134]
	v_add_f64 v[129:130], v[148:149], v[129:130]
	v_fma_f64 v[133:134], v[40:41], s[28:29], v[156:157]
	v_mul_f64 v[148:149], v[52:53], s[46:47]
	v_add_f64 v[18:19], v[131:132], v[18:19]
	v_fma_f64 v[131:132], v[50:51], s[16:17], -v[135:136]
	v_mul_f64 v[150:151], v[66:67], s[42:43]
	v_add_f64 v[137:138], v[139:140], v[137:138]
	v_fma_f64 v[139:140], v[119:120], s[16:17], v[154:155]
	v_fma_f64 v[144:145], v[113:114], s[16:17], -v[144:145]
	v_add_f64 v[133:134], v[133:134], v[16:17]
	v_fma_f64 v[152:153], v[48:49], s[16:17], v[148:149]
	v_mul_f64 v[154:155], v[60:61], s[42:43]
	v_add_f64 v[131:132], v[131:132], v[18:19]
	v_fma_f64 v[158:159], v[58:59], s[6:7], -v[150:151]
	v_mul_f64 v[160:161], v[87:88], s[36:37]
	v_add_f64 v[16:17], v[139:140], v[129:130]
	v_fma_f64 v[129:130], v[42:43], s[28:29], v[146:147]
	v_add_f64 v[18:19], v[144:145], v[137:138]
	v_add_f64 v[133:134], v[152:153], v[133:134]
	v_fma_f64 v[137:138], v[56:57], s[6:7], v[154:155]
	v_mul_f64 v[139:140], v[83:84], s[36:37]
	v_add_f64 v[131:132], v[158:159], v[131:132]
	v_fma_f64 v[144:145], v[70:71], s[34:35], -v[160:161]
	v_fma_f64 v[146:147], v[40:41], s[28:29], -v[156:157]
	v_add_f64 v[105:106], v[129:130], v[105:106]
	v_fma_f64 v[129:130], v[50:51], s[16:17], v[135:136]
	v_mul_f64 v[152:153], v[99:100], s[50:51]
	v_add_f64 v[133:134], v[137:138], v[133:134]
	v_fma_f64 v[135:136], v[95:96], s[34:35], v[139:140]
	v_mul_f64 v[137:138], v[101:102], s[50:51]
	v_add_f64 v[131:132], v[144:145], v[131:132]
	v_add_f64 v[103:104], v[146:147], v[103:104]
	v_fma_f64 v[144:145], v[48:49], s[16:17], -v[148:149]
	v_add_f64 v[105:106], v[129:130], v[105:106]
	v_fma_f64 v[129:130], v[58:59], s[6:7], v[150:151]
	v_fma_f64 v[146:147], v[93:94], s[2:3], -v[152:153]
	v_add_f64 v[133:134], v[135:136], v[133:134]
	v_fma_f64 v[135:136], v[97:98], s[2:3], v[137:138]
	v_mul_f64 v[148:149], v[115:116], s[26:27]
	v_mul_f64 v[150:151], v[121:122], s[26:27]
	v_add_f64 v[103:104], v[144:145], v[103:104]
	v_fma_f64 v[144:145], v[56:57], s[6:7], -v[154:155]
	v_add_f64 v[105:106], v[129:130], v[105:106]
	v_fma_f64 v[129:130], v[70:71], s[34:35], v[160:161]
	v_add_f64 v[131:132], v[146:147], v[131:132]
	v_add_f64 v[133:134], v[135:136], v[133:134]
	v_fma_f64 v[135:136], v[111:112], s[20:21], -v[148:149]
	v_fma_f64 v[146:147], v[117:118], s[20:21], v[150:151]
	v_mul_f64 v[154:155], v[123:124], s[22:23]
	v_add_f64 v[103:104], v[144:145], v[103:104]
	v_fma_f64 v[139:140], v[95:96], s[34:35], -v[139:140]
	v_mul_f64 v[144:145], v[125:126], s[22:23]
	v_add_f64 v[105:106], v[129:130], v[105:106]
	v_fma_f64 v[129:130], v[93:94], s[2:3], v[152:153]
	v_add_f64 v[131:132], v[135:136], v[131:132]
	v_add_f64 v[133:134], v[146:147], v[133:134]
	v_fma_f64 v[135:136], v[119:120], s[18:19], -v[154:155]
	v_mul_f64 v[146:147], v[46:47], s[48:49]
	v_add_f64 v[139:140], v[139:140], v[103:104]
	v_fma_f64 v[137:138], v[97:98], s[2:3], -v[137:138]
	v_fma_f64 v[152:153], v[113:114], s[18:19], v[144:145]
	v_add_f64 v[129:130], v[129:130], v[105:106]
	v_fma_f64 v[148:149], v[111:112], s[20:21], v[148:149]
	v_mul_f64 v[156:157], v[44:45], s[48:49]
	v_add_f64 v[103:104], v[135:136], v[131:132]
	v_fma_f64 v[131:132], v[42:43], s[8:9], -v[146:147]
	v_mul_f64 v[135:136], v[54:55], s[26:27]
	v_add_f64 v[137:138], v[137:138], v[139:140]
	v_fma_f64 v[139:140], v[117:118], s[20:21], -v[150:151]
	v_add_f64 v[105:106], v[152:153], v[133:134]
	v_add_f64 v[129:130], v[148:149], v[129:130]
	v_fma_f64 v[133:134], v[40:41], s[8:9], v[156:157]
	v_mul_f64 v[148:149], v[52:53], s[26:27]
	v_add_f64 v[22:23], v[131:132], v[22:23]
	v_fma_f64 v[131:132], v[50:51], s[20:21], -v[135:136]
	v_mul_f64 v[150:151], v[66:67], s[24:25]
	v_add_f64 v[137:138], v[139:140], v[137:138]
	v_fma_f64 v[139:140], v[119:120], s[18:19], v[154:155]
	v_fma_f64 v[144:145], v[113:114], s[18:19], -v[144:145]
	v_add_f64 v[133:134], v[133:134], v[20:21]
	v_fma_f64 v[152:153], v[48:49], s[20:21], v[148:149]
	v_mul_f64 v[154:155], v[60:61], s[24:25]
	v_add_f64 v[131:132], v[131:132], v[22:23]
	v_fma_f64 v[158:159], v[58:59], s[28:29], -v[150:151]
	v_mul_f64 v[160:161], v[87:88], s[50:51]
	v_add_f64 v[20:21], v[139:140], v[129:130]
	v_add_f64 v[22:23], v[144:145], v[137:138]
	v_fma_f64 v[129:130], v[42:43], s[8:9], v[146:147]
	v_add_f64 v[133:134], v[152:153], v[133:134]
	v_fma_f64 v[137:138], v[56:57], s[28:29], v[154:155]
	v_mul_f64 v[139:140], v[83:84], s[50:51]
	v_add_f64 v[131:132], v[158:159], v[131:132]
	v_fma_f64 v[144:145], v[70:71], s[2:3], -v[160:161]
	v_mul_f64 v[146:147], v[99:100], s[38:39]
	v_fma_f64 v[152:153], v[40:41], s[8:9], -v[156:157]
	v_add_f64 v[81:82], v[129:130], v[81:82]
	v_fma_f64 v[129:130], v[50:51], s[20:21], v[135:136]
	v_add_f64 v[133:134], v[137:138], v[133:134]
	v_fma_f64 v[135:136], v[95:96], s[2:3], v[139:140]
	v_mul_f64 v[137:138], v[101:102], s[38:39]
	v_add_f64 v[131:132], v[144:145], v[131:132]
	v_fma_f64 v[144:145], v[93:94], s[16:17], -v[146:147]
	v_add_f64 v[68:69], v[152:153], v[68:69]
	v_fma_f64 v[148:149], v[48:49], s[20:21], -v[148:149]
	v_add_f64 v[81:82], v[129:130], v[81:82]
	v_fma_f64 v[129:130], v[58:59], s[28:29], v[150:151]
	v_add_f64 v[133:134], v[135:136], v[133:134]
	v_fma_f64 v[135:136], v[97:98], s[16:17], v[137:138]
	v_mul_f64 v[150:151], v[115:116], s[36:37]
	v_add_f64 v[131:132], v[144:145], v[131:132]
	v_mul_f64 v[144:145], v[121:122], s[36:37]
	v_add_f64 v[68:69], v[148:149], v[68:69]
	v_fma_f64 v[148:149], v[56:57], s[28:29], -v[154:155]
	v_add_f64 v[81:82], v[129:130], v[81:82]
	v_fma_f64 v[129:130], v[70:71], s[2:3], v[160:161]
	v_add_f64 v[133:134], v[135:136], v[133:134]
	v_fma_f64 v[135:136], v[111:112], s[34:35], -v[150:151]
	v_mul_f64 v[152:153], v[123:124], s[40:41]
	v_fma_f64 v[154:155], v[117:118], s[34:35], v[144:145]
	v_mul_f64 v[156:157], v[125:126], s[40:41]
	v_add_f64 v[68:69], v[148:149], v[68:69]
	v_fma_f64 v[139:140], v[95:96], s[2:3], -v[139:140]
	v_add_f64 v[81:82], v[129:130], v[81:82]
	v_fma_f64 v[129:130], v[93:94], s[16:17], v[146:147]
	v_add_f64 v[131:132], v[135:136], v[131:132]
	v_fma_f64 v[135:136], v[119:120], s[6:7], -v[152:153]
	v_mul_f64 v[146:147], v[46:47], s[40:41]
	v_add_f64 v[133:134], v[154:155], v[133:134]
	v_fma_f64 v[148:149], v[113:114], s[6:7], v[156:157]
	v_add_f64 v[68:69], v[139:140], v[68:69]
	v_fma_f64 v[137:138], v[97:98], s[16:17], -v[137:138]
	v_add_f64 v[81:82], v[129:130], v[81:82]
	v_fma_f64 v[139:140], v[111:112], s[34:35], v[150:151]
	v_add_f64 v[129:130], v[135:136], v[131:132]
	v_fma_f64 v[135:136], v[42:43], s[6:7], -v[146:147]
	v_mul_f64 v[150:151], v[44:45], s[40:41]
	v_add_f64 v[131:132], v[148:149], v[133:134]
	v_fma_f64 v[133:134], v[117:118], s[34:35], -v[144:145]
	v_add_f64 v[68:69], v[137:138], v[68:69]
	v_fma_f64 v[137:138], v[119:120], s[6:7], v[152:153]
	v_add_f64 v[81:82], v[139:140], v[81:82]
	v_mul_f64 v[144:145], v[52:53], s[30:31]
	v_add_f64 v[85:86], v[135:136], v[85:86]
	v_fma_f64 v[135:136], v[40:41], s[6:7], v[150:151]
	v_mul_f64 v[154:155], v[54:55], s[30:31]
	v_fma_f64 v[152:153], v[113:114], s[6:7], -v[156:157]
	v_add_f64 v[68:69], v[133:134], v[68:69]
	v_mul_f64 v[148:149], v[66:67], s[54:55]
	v_add_f64 v[133:134], v[137:138], v[81:82]
	v_fma_f64 v[81:82], v[42:43], s[6:7], v[146:147]
	v_fma_f64 v[137:138], v[48:49], s[2:3], v[144:145]
	v_add_f64 v[62:63], v[135:136], v[62:63]
	v_mul_f64 v[146:147], v[60:61], s[54:55]
	v_mul_f64 v[156:157], v[87:88], s[26:27]
	v_add_f64 v[135:136], v[152:153], v[68:69]
	v_fma_f64 v[68:69], v[40:41], s[6:7], -v[150:151]
	v_mul_f64 v[150:151], v[83:84], s[26:27]
	v_add_f64 v[64:65], v[81:82], v[64:65]
	v_fma_f64 v[81:82], v[50:51], s[2:3], v[154:155]
	v_add_f64 v[62:63], v[137:138], v[62:63]
	v_fma_f64 v[137:138], v[56:57], s[18:19], v[146:147]
	v_fma_f64 v[139:140], v[50:51], s[2:3], -v[154:155]
	v_mul_f64 v[152:153], v[99:100], s[36:37]
	v_add_f64 v[68:69], v[68:69], v[89:90]
	v_fma_f64 v[89:90], v[58:59], s[18:19], v[148:149]
	v_mul_f64 v[46:47], v[46:47], s[44:45]
	v_add_f64 v[64:65], v[81:82], v[64:65]
	v_fma_f64 v[81:82], v[48:49], s[2:3], -v[144:145]
	v_add_f64 v[62:63], v[137:138], v[62:63]
	v_fma_f64 v[137:138], v[95:96], s[20:21], v[150:151]
	v_mul_f64 v[144:145], v[101:102], s[36:37]
	v_add_f64 v[85:86], v[139:140], v[85:86]
	v_fma_f64 v[139:140], v[58:59], s[18:19], -v[148:149]
	v_mul_f64 v[148:149], v[115:116], s[46:47]
	v_add_f64 v[64:65], v[89:90], v[64:65]
	v_fma_f64 v[89:90], v[70:71], s[20:21], v[156:157]
	v_add_f64 v[68:69], v[81:82], v[68:69]
	v_add_f64 v[62:63], v[137:138], v[62:63]
	v_fma_f64 v[137:138], v[97:98], s[34:35], v[144:145]
	v_fma_f64 v[81:82], v[56:57], s[18:19], -v[146:147]
	v_mul_f64 v[44:45], v[44:45], s[44:45]
	v_mul_f64 v[54:55], v[54:55], s[24:25]
	;; [unrolled: 1-line block ×3, first 2 shown]
	v_add_f64 v[64:65], v[89:90], v[64:65]
	v_fma_f64 v[89:90], v[93:94], s[34:35], v[152:153]
	v_mul_f64 v[66:67], v[66:67], s[46:47]
	v_add_f64 v[62:63], v[137:138], v[62:63]
	v_fma_f64 v[137:138], v[42:43], s[20:21], -v[46:47]
	v_add_f64 v[68:69], v[81:82], v[68:69]
	v_fma_f64 v[81:82], v[95:96], s[20:21], -v[150:151]
	v_fma_f64 v[42:43], v[42:43], s[20:21], v[46:47]
	v_mul_f64 v[60:61], v[60:61], s[46:47]
	v_add_f64 v[64:65], v[89:90], v[64:65]
	v_fma_f64 v[89:90], v[111:112], s[16:17], v[148:149]
	v_add_f64 v[85:86], v[139:140], v[85:86]
	v_add_f64 v[91:92], v[137:138], v[91:92]
	v_fma_f64 v[137:138], v[40:41], s[20:21], v[44:45]
	v_fma_f64 v[40:41], v[40:41], s[20:21], -v[44:45]
	v_add_f64 v[68:69], v[81:82], v[68:69]
	v_fma_f64 v[81:82], v[97:98], s[34:35], -v[144:145]
	v_fma_f64 v[144:145], v[50:51], s[28:29], -v[54:55]
	v_add_f64 v[46:47], v[89:90], v[64:65]
	v_fma_f64 v[89:90], v[48:49], s[28:29], v[52:53]
	v_add_f64 v[42:43], v[42:43], v[109:110]
	v_add_f64 v[64:65], v[137:138], v[107:108]
	v_fma_f64 v[50:51], v[50:51], s[28:29], v[54:55]
	v_add_f64 v[40:41], v[40:41], v[127:128]
	v_fma_f64 v[48:49], v[48:49], s[28:29], -v[52:53]
	v_fma_f64 v[139:140], v[70:71], s[20:21], -v[156:157]
	v_add_f64 v[68:69], v[81:82], v[68:69]
	v_add_f64 v[81:82], v[144:145], v[91:92]
	v_fma_f64 v[44:45], v[58:59], s[16:17], -v[66:67]
	v_mul_f64 v[87:88], v[87:88], s[22:23]
	v_add_f64 v[64:65], v[89:90], v[64:65]
	v_fma_f64 v[52:53], v[56:57], s[16:17], v[60:61]
	v_add_f64 v[42:43], v[50:51], v[42:43]
	v_fma_f64 v[50:51], v[58:59], s[16:17], v[66:67]
	v_mul_f64 v[58:59], v[83:84], s[22:23]
	v_add_f64 v[40:41], v[48:49], v[40:41]
	v_fma_f64 v[48:49], v[56:57], s[16:17], -v[60:61]
	v_add_f64 v[85:86], v[139:140], v[85:86]
	v_fma_f64 v[139:140], v[93:94], s[34:35], -v[152:153]
	v_mul_f64 v[146:147], v[121:122], s[46:47]
	v_add_f64 v[44:45], v[44:45], v[81:82]
	v_fma_f64 v[81:82], v[70:71], s[18:19], -v[87:88]
	v_add_f64 v[52:53], v[52:53], v[64:65]
	v_add_f64 v[42:43], v[50:51], v[42:43]
	v_fma_f64 v[50:51], v[95:96], s[18:19], v[58:59]
	v_mul_f64 v[60:61], v[99:100], s[40:41]
	v_mul_f64 v[64:65], v[101:102], s[40:41]
	v_add_f64 v[40:41], v[48:49], v[40:41]
	v_fma_f64 v[66:67], v[70:71], s[18:19], v[87:88]
	v_fma_f64 v[58:59], v[95:96], s[18:19], -v[58:59]
	v_add_f64 v[85:86], v[139:140], v[85:86]
	v_fma_f64 v[139:140], v[111:112], s[16:17], -v[148:149]
	v_fma_f64 v[54:55], v[117:118], s[16:17], -v[146:147]
	v_add_f64 v[44:45], v[81:82], v[44:45]
	v_add_f64 v[50:51], v[50:51], v[52:53]
	v_fma_f64 v[52:53], v[93:94], s[6:7], -v[60:61]
	v_fma_f64 v[70:71], v[97:98], s[6:7], v[64:65]
	v_mul_f64 v[81:82], v[115:116], s[14:15]
	v_mul_f64 v[83:84], v[121:122], s[14:15]
	v_add_f64 v[42:43], v[66:67], v[42:43]
	v_add_f64 v[40:41], v[58:59], v[40:41]
	v_fma_f64 v[58:59], v[93:94], s[6:7], v[60:61]
	v_fma_f64 v[60:61], v[97:98], s[6:7], -v[64:65]
	v_mul_f64 v[56:57], v[123:124], s[14:15]
	v_add_f64 v[85:86], v[139:140], v[85:86]
	v_fma_f64 v[139:140], v[117:118], s[16:17], v[146:147]
	v_add_f64 v[54:55], v[54:55], v[68:69]
	v_mul_f64 v[68:69], v[125:126], s[14:15]
	v_add_f64 v[44:45], v[52:53], v[44:45]
	v_add_f64 v[50:51], v[70:71], v[50:51]
	v_fma_f64 v[52:53], v[111:112], s[8:9], -v[81:82]
	v_fma_f64 v[64:65], v[117:118], s[8:9], v[83:84]
	v_mul_f64 v[70:71], v[123:124], s[50:51]
	v_mul_f64 v[87:88], v[125:126], s[50:51]
	v_add_f64 v[42:43], v[58:59], v[42:43]
	v_add_f64 v[40:41], v[60:61], v[40:41]
	v_fma_f64 v[58:59], v[111:112], s[8:9], v[81:82]
	v_fma_f64 v[60:61], v[117:118], s[8:9], -v[83:84]
	v_fma_f64 v[48:49], v[119:120], s[8:9], -v[56:57]
	v_fma_f64 v[56:57], v[119:120], s[8:9], v[56:57]
	v_add_f64 v[62:63], v[139:140], v[62:63]
	v_fma_f64 v[66:67], v[113:114], s[8:9], v[68:69]
	v_fma_f64 v[68:69], v[113:114], s[8:9], -v[68:69]
	v_add_f64 v[52:53], v[52:53], v[44:45]
	v_add_f64 v[50:51], v[64:65], v[50:51]
	v_fma_f64 v[64:65], v[119:120], s[2:3], -v[70:71]
	v_fma_f64 v[81:82], v[113:114], s[2:3], v[87:88]
	v_add_f64 v[58:59], v[58:59], v[42:43]
	v_add_f64 v[60:61], v[60:61], v[40:41]
	v_fma_f64 v[70:71], v[119:120], s[2:3], v[70:71]
	v_fma_f64 v[83:84], v[113:114], s[2:3], -v[87:88]
	v_add_f64 v[44:45], v[56:57], v[46:47]
	v_mov_b32_e32 v56, 4
	v_lshlrev_b32_sdwa v56, v56, v79 dst_sel:DWORD dst_unused:UNUSED_PAD src0_sel:DWORD src1_sel:BYTE_0
	v_mul_u32_u24_e32 v57, 0x1210, v75
	v_add_f64 v[40:41], v[48:49], v[85:86]
	v_add_f64 v[42:43], v[66:67], v[62:63]
	;; [unrolled: 1-line block ×7, first 2 shown]
	v_add3_u32 v56, 0, v57, v56
	ds_write_b128 v56, v[4:7]
	ds_write_b128 v56, v[24:27] offset:272
	ds_write_b128 v56, v[28:31] offset:544
	;; [unrolled: 1-line block ×16, first 2 shown]
	s_waitcnt lgkmcnt(0)
	s_barrier
	ds_read_b128 v[28:31], v141
	ds_read_b128 v[68:71], v141 offset:4624
	ds_read_b128 v[52:55], v141 offset:9248
	ds_read_b128 v[32:35], v141 offset:6256
	ds_read_b128 v[56:59], v141 offset:13872
	ds_read_b128 v[36:39], v141 offset:10880
	ds_read_b128 v[60:63], v141 offset:18496
	ds_read_b128 v[40:43], v141 offset:15504
	ds_read_b128 v[64:67], v141 offset:23120
	ds_read_b128 v[44:47], v141 offset:20128
	ds_read_b128 v[24:27], v142
	ds_read_b128 v[48:51], v141 offset:24752
	s_movk_i32 s2, 0x55
	v_cmp_gt_u32_e32 vcc, s2, v74
                                        ; implicit-def: $vgpr6_vgpr7
	s_and_saveexec_b64 s[2:3], vcc
	s_cbranch_execz .LBB0_15
; %bb.14:
	ds_read_b128 v[16:19], v141 offset:7888
	ds_read_b128 v[12:15], v141 offset:12512
	ds_read_b128 v[8:11], v141 offset:17136
	ds_read_b128 v[0:3], v141 offset:21760
	ds_read_b128 v[20:23], v143
	ds_read_b128 v[4:7], v141 offset:26384
.LBB0_15:
	s_or_b64 exec, exec, s[2:3]
	v_mul_u32_u24_e32 v75, 5, v74
	v_lshlrev_b32_e32 v75, 4, v75
	v_mov_b32_e32 v79, s13
	v_add_co_u32_e64 v75, s[2:3], s12, v75
	v_addc_co_u32_e64 v81, s[2:3], 0, v79, s[2:3]
	s_movk_i32 s6, 0x1100
	v_add_co_u32_e64 v103, s[2:3], s6, v75
	v_addc_co_u32_e64 v104, s[2:3], 0, v81, s[2:3]
	s_movk_i32 s14, 0x1000
	v_add_co_u32_e64 v105, s[2:3], s14, v75
	v_addc_co_u32_e64 v106, s[2:3], 0, v81, s[2:3]
	global_load_dwordx4 v[83:86], v[105:106], off offset:256
	global_load_dwordx4 v[87:90], v[103:104], off offset:48
	global_load_dwordx4 v[91:94], v[103:104], off offset:32
	global_load_dwordx4 v[95:98], v[103:104], off offset:16
	global_load_dwordx4 v[99:102], v[105:106], off offset:320
	v_mov_b32_e32 v82, 0
	v_mul_i32_i24_e32 v81, 5, v78
	v_lshlrev_b64 v[103:104], 4, v[81:82]
	s_mov_b32 s7, 0xbfebb67a
	v_add_co_u32_e64 v75, s[2:3], s12, v103
	v_addc_co_u32_e64 v79, s[2:3], v79, v104, s[2:3]
	v_add_co_u32_e64 v123, s[2:3], s14, v75
	v_addc_co_u32_e64 v124, s[2:3], 0, v79, s[2:3]
	global_load_dwordx4 v[103:106], v[123:124], off offset:256
	v_add_co_u32_e64 v125, s[2:3], s6, v75
	v_addc_co_u32_e64 v126, s[2:3], 0, v79, s[2:3]
	global_load_dwordx4 v[107:110], v[125:126], off offset:16
	global_load_dwordx4 v[111:114], v[125:126], off offset:32
	;; [unrolled: 1-line block ×4, first 2 shown]
	s_mov_b32 s2, 0xe8584caa
	s_mov_b32 s3, 0x3febb67a
	;; [unrolled: 1-line block ×3, first 2 shown]
	s_waitcnt vmcnt(0) lgkmcnt(0)
	s_barrier
	v_mul_f64 v[123:124], v[70:71], v[85:86]
	v_mul_f64 v[129:130], v[62:63], v[89:90]
	;; [unrolled: 1-line block ×10, first 2 shown]
	v_fma_f64 v[56:57], v[56:57], v[91:92], -v[127:128]
	v_fma_f64 v[52:53], v[52:53], v[95:96], -v[125:126]
	v_fma_f64 v[58:59], v[58:59], v[91:92], v[93:94]
	v_fma_f64 v[60:61], v[60:61], v[87:88], -v[129:130]
	v_fma_f64 v[64:65], v[64:65], v[99:100], -v[131:132]
	v_fma_f64 v[66:67], v[66:67], v[99:100], v[101:102]
	v_fma_f64 v[68:69], v[68:69], v[83:84], -v[123:124]
	v_mul_f64 v[133:134], v[34:35], v[105:106]
	v_mul_f64 v[105:106], v[32:33], v[105:106]
	;; [unrolled: 1-line block ×7, first 2 shown]
	v_fma_f64 v[70:71], v[70:71], v[83:84], v[85:86]
	v_fma_f64 v[54:55], v[54:55], v[95:96], v[97:98]
	;; [unrolled: 1-line block ×3, first 2 shown]
	v_fma_f64 v[83:84], v[32:33], v[103:104], -v[133:134]
	v_fma_f64 v[85:86], v[34:35], v[103:104], v[105:106]
	v_fma_f64 v[93:94], v[42:43], v[111:112], v[113:114]
	v_add_f64 v[32:33], v[28:29], v[52:53]
	v_add_f64 v[34:35], v[52:53], v[60:61]
	v_add_f64 v[42:43], v[52:53], -v[60:61]
	v_add_f64 v[52:53], v[56:57], v[64:65]
	v_add_f64 v[97:98], v[58:59], v[66:67]
	v_mul_f64 v[117:118], v[44:45], v[117:118]
	v_fma_f64 v[87:88], v[36:37], v[107:108], -v[135:136]
	v_fma_f64 v[89:90], v[38:39], v[107:108], v[109:110]
	v_fma_f64 v[91:92], v[40:41], v[111:112], -v[137:138]
	v_fma_f64 v[95:96], v[44:45], v[115:116], -v[139:140]
	v_add_f64 v[36:37], v[54:55], -v[62:63]
	v_add_f64 v[38:39], v[30:31], v[54:55]
	v_add_f64 v[40:41], v[54:55], v[62:63]
	;; [unrolled: 1-line block ×3, first 2 shown]
	v_add_f64 v[54:55], v[58:59], -v[66:67]
	v_add_f64 v[58:59], v[70:71], v[58:59]
	v_add_f64 v[56:57], v[56:57], -v[64:65]
	v_fma_f64 v[70:71], v[97:98], -0.5, v[70:71]
	v_fma_f64 v[52:53], v[52:53], -0.5, v[68:69]
	v_mul_f64 v[144:145], v[50:51], v[121:122]
	v_mul_f64 v[121:122], v[48:49], v[121:122]
	v_add_f64 v[101:102], v[87:88], v[95:96]
	v_fma_f64 v[28:29], v[34:35], -0.5, v[28:29]
	v_add_f64 v[34:35], v[38:39], v[62:63]
	v_fma_f64 v[30:31], v[40:41], -0.5, v[30:31]
	v_fma_f64 v[38:39], v[56:57], s[6:7], v[70:71]
	v_fma_f64 v[40:41], v[54:55], s[6:7], v[52:53]
	v_fma_f64 v[48:49], v[48:49], v[119:120], -v[144:145]
	v_fma_f64 v[50:51], v[50:51], v[119:120], v[121:122]
	v_add_f64 v[99:100], v[24:25], v[87:88]
	v_fma_f64 v[52:53], v[54:55], s[2:3], v[52:53]
	v_fma_f64 v[54:55], v[56:57], s[2:3], v[70:71]
	v_add_f64 v[56:57], v[58:59], v[66:67]
	v_fma_f64 v[58:59], v[101:102], -0.5, v[24:25]
	v_mul_f64 v[24:25], v[38:39], s[2:3]
	v_mul_f64 v[62:63], v[40:41], -0.5
	v_fma_f64 v[46:47], v[46:47], v[115:116], v[117:118]
	v_add_f64 v[105:106], v[91:92], v[48:49]
	v_add_f64 v[68:69], v[93:94], v[50:51]
	;; [unrolled: 1-line block ×4, first 2 shown]
	v_mul_f64 v[64:65], v[52:53], s[6:7]
	v_mul_f64 v[66:67], v[54:55], -0.5
	v_fma_f64 v[101:102], v[36:37], s[6:7], v[28:29]
	v_fma_f64 v[24:25], v[52:53], 0.5, v[24:25]
	v_fma_f64 v[52:53], v[54:55], s[2:3], v[62:63]
	v_add_f64 v[103:104], v[89:90], -v[46:47]
	v_add_f64 v[107:108], v[93:94], -v[50:51]
	;; [unrolled: 1-line block ×3, first 2 shown]
	v_fma_f64 v[60:61], v[105:106], -0.5, v[83:84]
	v_fma_f64 v[70:71], v[36:37], s[2:3], v[28:29]
	v_fma_f64 v[54:55], v[38:39], 0.5, v[64:65]
	v_fma_f64 v[62:63], v[40:41], s[6:7], v[66:67]
	v_fma_f64 v[64:65], v[68:69], -0.5, v[85:86]
	v_add_f64 v[28:29], v[32:33], v[44:45]
	v_add_f64 v[32:33], v[32:33], -v[44:45]
	v_add_f64 v[40:41], v[101:102], v[52:53]
	v_add_f64 v[44:45], v[101:102], -v[52:53]
	v_add_f64 v[52:53], v[89:90], v[46:47]
	v_fma_f64 v[105:106], v[42:43], s[6:7], v[30:31]
	v_fma_f64 v[109:110], v[42:43], s[2:3], v[30:31]
	v_add_f64 v[30:31], v[34:35], v[56:57]
	v_add_f64 v[34:35], v[34:35], -v[56:57]
	v_add_f64 v[56:57], v[26:27], v[89:90]
	v_add_f64 v[36:37], v[70:71], v[24:25]
	v_add_f64 v[24:25], v[70:71], -v[24:25]
	v_fma_f64 v[68:69], v[103:104], s[2:3], v[58:59]
	v_fma_f64 v[70:71], v[103:104], s[6:7], v[58:59]
	;; [unrolled: 1-line block ×3, first 2 shown]
	v_fma_f64 v[26:27], v[52:53], -0.5, v[26:27]
	v_fma_f64 v[52:53], v[107:108], s[2:3], v[60:61]
	v_fma_f64 v[89:90], v[107:108], s[6:7], v[60:61]
	;; [unrolled: 1-line block ×3, first 2 shown]
	v_add_f64 v[64:65], v[87:88], -v[95:96]
	v_add_f64 v[87:88], v[56:57], v[46:47]
	v_add_f64 v[46:47], v[83:84], v[91:92]
	;; [unrolled: 1-line block ×3, first 2 shown]
	v_mul_f64 v[56:57], v[58:59], s[2:3]
	v_mul_f64 v[91:92], v[52:53], s[6:7]
	v_mul_f64 v[83:84], v[89:90], -0.5
	v_mul_f64 v[93:94], v[60:61], -0.5
	v_add_f64 v[66:67], v[99:100], v[95:96]
	v_fma_f64 v[95:96], v[64:65], s[6:7], v[26:27]
	v_fma_f64 v[97:98], v[64:65], s[2:3], v[26:27]
	v_add_f64 v[64:65], v[46:47], v[48:49]
	v_add_f64 v[85:86], v[85:86], v[50:51]
	v_fma_f64 v[99:100], v[52:53], 0.5, v[56:57]
	v_fma_f64 v[91:92], v[58:59], 0.5, v[91:92]
	v_fma_f64 v[83:84], v[60:61], s[2:3], v[83:84]
	v_fma_f64 v[89:90], v[89:90], s[6:7], v[93:94]
	v_add_f64 v[38:39], v[105:106], v[54:55]
	v_add_f64 v[42:43], v[109:110], v[62:63]
	v_add_f64 v[26:27], v[105:106], -v[54:55]
	v_add_f64 v[46:47], v[109:110], -v[62:63]
	v_add_f64 v[48:49], v[66:67], v[64:65]
	v_add_f64 v[50:51], v[87:88], v[85:86]
	;; [unrolled: 1-line block ×6, first 2 shown]
	v_add_f64 v[60:61], v[66:67], -v[64:65]
	v_add_f64 v[64:65], v[68:69], -v[99:100]
	;; [unrolled: 1-line block ×6, first 2 shown]
	ds_write_b128 v141, v[28:31]
	ds_write_b128 v141, v[36:39] offset:4624
	ds_write_b128 v141, v[40:43] offset:9248
	;; [unrolled: 1-line block ×5, first 2 shown]
	ds_write_b128 v142, v[48:51]
	ds_write_b128 v142, v[52:55] offset:4624
	ds_write_b128 v142, v[56:59] offset:9248
	;; [unrolled: 1-line block ×5, first 2 shown]
	s_and_saveexec_b64 s[8:9], vcc
	s_cbranch_execz .LBB0_17
; %bb.16:
	v_add_u32_e32 v24, 0xffffffab, v74
	v_cndmask_b32_e32 v24, v24, v80, vcc
	v_mul_i32_i24_e32 v81, 5, v24
	v_lshlrev_b64 v[24:25], 4, v[81:82]
	v_mov_b32_e32 v26, s13
	v_add_co_u32_e32 v24, vcc, s12, v24
	v_addc_co_u32_e32 v32, vcc, v26, v25, vcc
	v_add_co_u32_e32 v44, vcc, 0x1100, v24
	v_addc_co_u32_e32 v45, vcc, 0, v32, vcc
	v_add_co_u32_e32 v46, vcc, s14, v24
	global_load_dwordx4 v[24:27], v[44:45], off offset:32
	global_load_dwordx4 v[28:31], v[44:45], off offset:16
	v_addc_co_u32_e32 v47, vcc, 0, v32, vcc
	global_load_dwordx4 v[32:35], v[46:47], off offset:320
	global_load_dwordx4 v[36:39], v[44:45], off offset:48
	global_load_dwordx4 v[40:43], v[46:47], off offset:256
	s_waitcnt vmcnt(4)
	v_mul_f64 v[46:47], v[10:11], v[26:27]
	v_mul_f64 v[26:27], v[8:9], v[26:27]
	s_waitcnt vmcnt(2)
	v_mul_f64 v[48:49], v[4:5], v[34:35]
	v_mul_f64 v[34:35], v[6:7], v[34:35]
	;; [unrolled: 1-line block ×4, first 2 shown]
	s_waitcnt vmcnt(1)
	v_mul_f64 v[50:51], v[2:3], v[38:39]
	v_mul_f64 v[38:39], v[0:1], v[38:39]
	s_waitcnt vmcnt(0)
	v_mul_f64 v[52:53], v[18:19], v[42:43]
	v_mul_f64 v[42:43], v[16:17], v[42:43]
	v_fma_f64 v[8:9], v[8:9], v[24:25], -v[46:47]
	v_fma_f64 v[10:11], v[10:11], v[24:25], v[26:27]
	v_fma_f64 v[6:7], v[6:7], v[32:33], v[48:49]
	v_fma_f64 v[4:5], v[4:5], v[32:33], -v[34:35]
	v_fma_f64 v[14:15], v[14:15], v[28:29], v[30:31]
	v_fma_f64 v[12:13], v[12:13], v[28:29], -v[44:45]
	;; [unrolled: 2-line block ×4, first 2 shown]
	v_add_f64 v[24:25], v[10:11], v[6:7]
	v_add_f64 v[26:27], v[8:9], v[4:5]
	v_add_f64 v[36:37], v[10:11], -v[6:7]
	v_add_f64 v[30:31], v[20:21], v[12:13]
	v_add_f64 v[34:35], v[14:15], v[2:3]
	v_add_f64 v[38:39], v[8:9], -v[4:5]
	v_add_f64 v[10:11], v[18:19], v[10:11]
	v_add_f64 v[28:29], v[22:23], v[14:15]
	v_fma_f64 v[24:25], v[24:25], -0.5, v[18:19]
	v_fma_f64 v[26:27], v[26:27], -0.5, v[16:17]
	v_add_f64 v[32:33], v[12:13], -v[0:1]
	v_add_f64 v[12:13], v[12:13], v[0:1]
	v_add_f64 v[18:19], v[30:31], v[0:1]
	v_fma_f64 v[0:1], v[34:35], -0.5, v[22:23]
	v_add_f64 v[6:7], v[10:11], v[6:7]
	v_add_f64 v[8:9], v[16:17], v[8:9]
	v_fma_f64 v[10:11], v[38:39], s[6:7], v[24:25]
	v_fma_f64 v[30:31], v[36:37], s[2:3], v[26:27]
	v_add_f64 v[16:17], v[28:29], v[2:3]
	v_fma_f64 v[28:29], v[38:39], s[2:3], v[24:25]
	v_fma_f64 v[22:23], v[36:37], s[6:7], v[26:27]
	v_add_f64 v[14:15], v[14:15], -v[2:3]
	v_fma_f64 v[12:13], v[12:13], -0.5, v[20:21]
	v_fma_f64 v[24:25], v[32:33], s[2:3], v[0:1]
	v_fma_f64 v[26:27], v[32:33], s[6:7], v[0:1]
	v_mul_f64 v[20:21], v[30:31], s[6:7]
	v_mul_f64 v[32:33], v[10:11], s[2:3]
	v_add_f64 v[4:5], v[8:9], v[4:5]
	v_mul_f64 v[8:9], v[28:29], -0.5
	v_mul_f64 v[34:35], v[22:23], -0.5
	v_fma_f64 v[36:37], v[14:15], s[6:7], v[12:13]
	v_fma_f64 v[12:13], v[14:15], s[2:3], v[12:13]
	v_add_f64 v[2:3], v[16:17], -v[6:7]
	v_fma_f64 v[20:21], v[10:11], 0.5, v[20:21]
	v_fma_f64 v[30:31], v[30:31], 0.5, v[32:33]
	v_add_f64 v[0:1], v[18:19], -v[4:5]
	v_fma_f64 v[8:9], v[22:23], s[6:7], v[8:9]
	v_fma_f64 v[28:29], v[28:29], s[2:3], v[34:35]
	v_add_f64 v[6:7], v[16:17], v[6:7]
	v_add_f64 v[4:5], v[18:19], v[4:5]
	v_add_f64 v[14:15], v[26:27], -v[20:21]
	v_add_f64 v[22:23], v[26:27], v[20:21]
	v_add_f64 v[20:21], v[12:13], v[30:31]
	v_add_f64 v[18:19], v[24:25], v[8:9]
	v_add_f64 v[16:17], v[36:37], v[28:29]
	v_add_f64 v[12:13], v[12:13], -v[30:31]
	v_add_f64 v[10:11], v[24:25], -v[8:9]
	;; [unrolled: 1-line block ×3, first 2 shown]
	ds_write_b128 v141, v[4:7] offset:3264
	ds_write_b128 v141, v[0:3] offset:17136
	;; [unrolled: 1-line block ×6, first 2 shown]
.LBB0_17:
	s_or_b64 exec, exec, s[8:9]
	s_waitcnt lgkmcnt(0)
	s_barrier
	ds_read_b128 v[4:7], v141
	s_add_u32 s6, s12, 0x6b50
	v_lshlrev_b32_e32 v0, 4, v74
	s_addc_u32 s7, s13, 0
	v_sub_u32_e32 v10, 0, v0
	v_cmp_ne_u32_e32 vcc, 0, v74
                                        ; implicit-def: $vgpr2_vgpr3
                                        ; implicit-def: $vgpr8_vgpr9
	s_and_saveexec_b64 s[2:3], vcc
	s_xor_b64 s[2:3], exec, s[2:3]
	s_cbranch_execz .LBB0_19
; %bb.18:
	v_mov_b32_e32 v75, 0
	v_lshlrev_b64 v[0:1], 4, v[74:75]
	v_mov_b32_e32 v2, s7
	v_add_co_u32_e32 v0, vcc, s6, v0
	v_addc_co_u32_e32 v1, vcc, v2, v1, vcc
	global_load_dwordx4 v[11:14], v[0:1], off
	ds_read_b128 v[0:3], v10 offset:27744
	s_waitcnt lgkmcnt(0)
	v_add_f64 v[8:9], v[4:5], -v[0:1]
	v_add_f64 v[15:16], v[6:7], v[2:3]
	v_add_f64 v[2:3], v[6:7], -v[2:3]
	v_add_f64 v[0:1], v[4:5], v[0:1]
	v_mul_f64 v[6:7], v[8:9], 0.5
	v_mul_f64 v[4:5], v[15:16], 0.5
	v_mul_f64 v[2:3], v[2:3], 0.5
	s_waitcnt vmcnt(0)
	v_mul_f64 v[8:9], v[6:7], v[13:14]
	v_fma_f64 v[15:16], v[4:5], v[13:14], v[2:3]
	v_fma_f64 v[2:3], v[4:5], v[13:14], -v[2:3]
	v_fma_f64 v[17:18], v[0:1], 0.5, v[8:9]
	v_fma_f64 v[0:1], v[0:1], 0.5, -v[8:9]
	v_fma_f64 v[8:9], -v[11:12], v[6:7], v[15:16]
	v_fma_f64 v[2:3], -v[11:12], v[6:7], v[2:3]
	v_fma_f64 v[13:14], v[4:5], v[11:12], v[17:18]
	v_fma_f64 v[0:1], -v[4:5], v[11:12], v[0:1]
                                        ; implicit-def: $vgpr4_vgpr5
	ds_write_b64 v141, v[13:14]
.LBB0_19:
	s_andn2_saveexec_b64 s[2:3], s[2:3]
	s_cbranch_execz .LBB0_21
; %bb.20:
	s_waitcnt lgkmcnt(0)
	v_add_f64 v[2:3], v[4:5], v[6:7]
	v_mov_b32_e32 v13, 0
	ds_read_b64 v[11:12], v13 offset:13880
	v_add_f64 v[0:1], v[4:5], -v[6:7]
	v_mov_b32_e32 v8, 0
	v_mov_b32_e32 v9, 0
	s_waitcnt lgkmcnt(0)
	v_xor_b32_e32 v12, 0x80000000, v12
	ds_write_b64 v13, v[11:12] offset:13880
	ds_write_b64 v141, v[2:3]
	v_mov_b32_e32 v2, v8
	v_mov_b32_e32 v3, v9
.LBB0_21:
	s_or_b64 exec, exec, s[2:3]
	v_mov_b32_e32 v79, 0
	s_waitcnt lgkmcnt(0)
	v_lshlrev_b64 v[4:5], 4, v[78:79]
	v_mov_b32_e32 v6, s7
	v_add_co_u32_e32 v4, vcc, s6, v4
	v_addc_co_u32_e32 v5, vcc, v6, v5, vcc
	global_load_dwordx4 v[4:7], v[4:5], off
	v_mov_b32_e32 v81, v79
	v_lshlrev_b64 v[11:12], 4, v[80:81]
	v_mov_b32_e32 v13, s7
	v_add_co_u32_e32 v11, vcc, s6, v11
	v_addc_co_u32_e32 v12, vcc, v13, v12, vcc
	global_load_dwordx4 v[11:14], v[11:12], off
	ds_write_b64 v141, v[8:9] offset:8
	ds_write_b128 v10, v[0:3] offset:27744
	ds_read_b128 v[0:3], v142
	ds_read_b128 v[15:18], v10 offset:26112
	v_add_u32_e32 v78, 0x132, v74
	v_mov_b32_e32 v27, s7
	s_waitcnt lgkmcnt(0)
	v_add_f64 v[8:9], v[0:1], -v[15:16]
	v_add_f64 v[19:20], v[2:3], v[17:18]
	v_add_f64 v[2:3], v[2:3], -v[17:18]
	v_add_f64 v[0:1], v[0:1], v[15:16]
	v_lshlrev_b64 v[15:16], 4, v[78:79]
	v_add_u32_e32 v78, 0x198, v74
	v_mul_f64 v[17:18], v[8:9], 0.5
	v_mul_f64 v[19:20], v[19:20], 0.5
	;; [unrolled: 1-line block ×3, first 2 shown]
	s_waitcnt vmcnt(1)
	v_mul_f64 v[8:9], v[17:18], v[6:7]
	v_fma_f64 v[21:22], v[19:20], v[6:7], v[2:3]
	v_fma_f64 v[6:7], v[19:20], v[6:7], -v[2:3]
	v_fma_f64 v[23:24], v[0:1], 0.5, v[8:9]
	v_fma_f64 v[25:26], v[0:1], 0.5, -v[8:9]
	v_add_co_u32_e32 v0, vcc, s6, v15
	v_addc_co_u32_e32 v1, vcc, v27, v16, vcc
	global_load_dwordx4 v[0:3], v[0:1], off
	v_fma_f64 v[8:9], -v[4:5], v[17:18], v[21:22]
	v_fma_f64 v[17:18], -v[4:5], v[17:18], v[6:7]
	v_fma_f64 v[6:7], v[19:20], v[4:5], v[23:24]
	v_fma_f64 v[15:16], -v[19:20], v[4:5], v[25:26]
	ds_write_b128 v142, v[6:9]
	ds_write_b128 v10, v[15:18] offset:26112
	ds_read_b128 v[4:7], v143
	ds_read_b128 v[15:18], v10 offset:24480
	s_waitcnt lgkmcnt(0)
	v_add_f64 v[8:9], v[4:5], -v[15:16]
	v_add_f64 v[19:20], v[6:7], v[17:18]
	v_add_f64 v[6:7], v[6:7], -v[17:18]
	v_add_f64 v[4:5], v[4:5], v[15:16]
	v_mul_f64 v[8:9], v[8:9], 0.5
	v_mul_f64 v[17:18], v[19:20], 0.5
	;; [unrolled: 1-line block ×3, first 2 shown]
	v_lshlrev_b64 v[19:20], 4, v[78:79]
	v_add_u32_e32 v78, 0x1fe, v74
	s_waitcnt vmcnt(1)
	v_mul_f64 v[15:16], v[8:9], v[13:14]
	v_fma_f64 v[21:22], v[17:18], v[13:14], v[6:7]
	v_fma_f64 v[13:14], v[17:18], v[13:14], -v[6:7]
	v_fma_f64 v[23:24], v[4:5], 0.5, v[15:16]
	v_fma_f64 v[25:26], v[4:5], 0.5, -v[15:16]
	v_add_co_u32_e32 v4, vcc, s6, v19
	v_addc_co_u32_e32 v5, vcc, v27, v20, vcc
	global_load_dwordx4 v[4:7], v[4:5], off
	v_fma_f64 v[15:16], -v[11:12], v[8:9], v[21:22]
	v_fma_f64 v[19:20], -v[11:12], v[8:9], v[13:14]
	v_fma_f64 v[13:14], v[17:18], v[11:12], v[23:24]
	v_fma_f64 v[17:18], -v[17:18], v[11:12], v[25:26]
	ds_write_b128 v143, v[13:16]
	ds_write_b128 v10, v[17:20] offset:24480
	ds_read_b128 v[11:14], v141 offset:4896
	ds_read_b128 v[15:18], v10 offset:22848
	s_waitcnt lgkmcnt(0)
	v_add_f64 v[8:9], v[11:12], -v[15:16]
	v_add_f64 v[19:20], v[13:14], v[17:18]
	v_add_f64 v[13:14], v[13:14], -v[17:18]
	v_add_f64 v[11:12], v[11:12], v[15:16]
	v_lshlrev_b64 v[17:18], 4, v[78:79]
	v_add_u32_e32 v78, 0x264, v74
	v_mul_f64 v[8:9], v[8:9], 0.5
	v_mul_f64 v[19:20], v[19:20], 0.5
	;; [unrolled: 1-line block ×3, first 2 shown]
	s_waitcnt vmcnt(1)
	v_mul_f64 v[15:16], v[8:9], v[2:3]
	v_fma_f64 v[21:22], v[19:20], v[2:3], v[13:14]
	v_fma_f64 v[2:3], v[19:20], v[2:3], -v[13:14]
	v_fma_f64 v[23:24], v[11:12], 0.5, v[15:16]
	v_fma_f64 v[25:26], v[11:12], 0.5, -v[15:16]
	v_add_co_u32_e32 v11, vcc, s6, v17
	v_addc_co_u32_e32 v12, vcc, v27, v18, vcc
	global_load_dwordx4 v[11:14], v[11:12], off
	v_fma_f64 v[17:18], -v[0:1], v[8:9], v[21:22]
	v_fma_f64 v[15:16], v[19:20], v[0:1], v[23:24]
	v_fma_f64 v[2:3], -v[0:1], v[8:9], v[2:3]
	v_fma_f64 v[0:1], -v[19:20], v[0:1], v[25:26]
	ds_write_b128 v141, v[15:18] offset:4896
	ds_write_b128 v10, v[0:3] offset:22848
	ds_read_b128 v[0:3], v141 offset:6528
	ds_read_b128 v[15:18], v10 offset:21216
	s_waitcnt lgkmcnt(0)
	v_add_f64 v[8:9], v[0:1], -v[15:16]
	v_add_f64 v[19:20], v[2:3], v[17:18]
	v_add_f64 v[2:3], v[2:3], -v[17:18]
	v_add_f64 v[0:1], v[0:1], v[15:16]
	v_lshlrev_b64 v[15:16], 4, v[78:79]
	v_add_u32_e32 v78, 0x2ca, v74
	v_mul_f64 v[17:18], v[8:9], 0.5
	v_mul_f64 v[19:20], v[19:20], 0.5
	;; [unrolled: 1-line block ×3, first 2 shown]
	s_waitcnt vmcnt(1)
	v_mul_f64 v[8:9], v[17:18], v[6:7]
	v_fma_f64 v[21:22], v[19:20], v[6:7], v[2:3]
	v_fma_f64 v[6:7], v[19:20], v[6:7], -v[2:3]
	v_fma_f64 v[23:24], v[0:1], 0.5, v[8:9]
	v_fma_f64 v[25:26], v[0:1], 0.5, -v[8:9]
	v_add_co_u32_e32 v0, vcc, s6, v15
	v_addc_co_u32_e32 v1, vcc, v27, v16, vcc
	global_load_dwordx4 v[0:3], v[0:1], off
	v_fma_f64 v[8:9], -v[4:5], v[17:18], v[21:22]
	v_fma_f64 v[17:18], -v[4:5], v[17:18], v[6:7]
	v_fma_f64 v[6:7], v[19:20], v[4:5], v[23:24]
	v_fma_f64 v[15:16], -v[19:20], v[4:5], v[25:26]
	ds_write_b128 v141, v[6:9] offset:6528
	ds_write_b128 v10, v[15:18] offset:21216
	ds_read_b128 v[4:7], v141 offset:8160
	ds_read_b128 v[15:18], v10 offset:19584
	s_waitcnt lgkmcnt(0)
	v_add_f64 v[8:9], v[4:5], -v[15:16]
	v_add_f64 v[19:20], v[6:7], v[17:18]
	v_add_f64 v[6:7], v[6:7], -v[17:18]
	v_add_f64 v[4:5], v[4:5], v[15:16]
	v_mul_f64 v[8:9], v[8:9], 0.5
	v_mul_f64 v[17:18], v[19:20], 0.5
	v_mul_f64 v[6:7], v[6:7], 0.5
	v_lshlrev_b64 v[19:20], 4, v[78:79]
	s_waitcnt vmcnt(1)
	v_mul_f64 v[15:16], v[8:9], v[13:14]
	v_fma_f64 v[21:22], v[17:18], v[13:14], v[6:7]
	v_fma_f64 v[13:14], v[17:18], v[13:14], -v[6:7]
	v_fma_f64 v[23:24], v[4:5], 0.5, v[15:16]
	v_fma_f64 v[25:26], v[4:5], 0.5, -v[15:16]
	v_add_co_u32_e32 v4, vcc, s6, v19
	v_addc_co_u32_e32 v5, vcc, v27, v20, vcc
	global_load_dwordx4 v[4:7], v[4:5], off
	v_fma_f64 v[15:16], -v[11:12], v[8:9], v[21:22]
	v_fma_f64 v[19:20], -v[11:12], v[8:9], v[13:14]
	v_fma_f64 v[13:14], v[17:18], v[11:12], v[23:24]
	v_fma_f64 v[17:18], -v[17:18], v[11:12], v[25:26]
	ds_write_b128 v141, v[13:16] offset:8160
	ds_write_b128 v10, v[17:20] offset:19584
	ds_read_b128 v[11:14], v141 offset:9792
	ds_read_b128 v[15:18], v10 offset:17952
	v_cmp_gt_u32_e32 vcc, 51, v74
	s_waitcnt lgkmcnt(0)
	v_add_f64 v[8:9], v[11:12], -v[15:16]
	v_add_f64 v[19:20], v[13:14], v[17:18]
	v_add_f64 v[13:14], v[13:14], -v[17:18]
	v_add_f64 v[11:12], v[11:12], v[15:16]
	v_mul_f64 v[8:9], v[8:9], 0.5
	v_mul_f64 v[17:18], v[19:20], 0.5
	;; [unrolled: 1-line block ×3, first 2 shown]
	s_waitcnt vmcnt(1)
	v_mul_f64 v[15:16], v[8:9], v[2:3]
	v_fma_f64 v[19:20], v[17:18], v[2:3], v[13:14]
	v_fma_f64 v[2:3], v[17:18], v[2:3], -v[13:14]
	v_fma_f64 v[21:22], v[11:12], 0.5, v[15:16]
	v_fma_f64 v[15:16], v[11:12], 0.5, -v[15:16]
	v_fma_f64 v[13:14], -v[0:1], v[8:9], v[19:20]
	v_fma_f64 v[2:3], -v[0:1], v[8:9], v[2:3]
	v_fma_f64 v[11:12], v[17:18], v[0:1], v[21:22]
	v_fma_f64 v[0:1], -v[17:18], v[0:1], v[15:16]
	ds_write_b128 v141, v[11:14] offset:9792
	ds_write_b128 v10, v[0:3] offset:17952
	ds_read_b128 v[0:3], v141 offset:11424
	ds_read_b128 v[11:14], v10 offset:16320
	s_waitcnt lgkmcnt(0)
	v_add_f64 v[8:9], v[0:1], -v[11:12]
	v_add_f64 v[15:16], v[2:3], v[13:14]
	v_add_f64 v[2:3], v[2:3], -v[13:14]
	v_add_f64 v[0:1], v[0:1], v[11:12]
	v_mul_f64 v[8:9], v[8:9], 0.5
	v_mul_f64 v[13:14], v[15:16], 0.5
	;; [unrolled: 1-line block ×3, first 2 shown]
	s_waitcnt vmcnt(0)
	v_mul_f64 v[11:12], v[8:9], v[6:7]
	v_fma_f64 v[15:16], v[13:14], v[6:7], v[2:3]
	v_fma_f64 v[6:7], v[13:14], v[6:7], -v[2:3]
	v_fma_f64 v[17:18], v[0:1], 0.5, v[11:12]
	v_fma_f64 v[11:12], v[0:1], 0.5, -v[11:12]
	v_fma_f64 v[2:3], -v[4:5], v[8:9], v[15:16]
	v_fma_f64 v[6:7], -v[4:5], v[8:9], v[6:7]
	v_fma_f64 v[0:1], v[13:14], v[4:5], v[17:18]
	v_fma_f64 v[4:5], -v[13:14], v[4:5], v[11:12]
	ds_write_b128 v141, v[0:3] offset:11424
	ds_write_b128 v10, v[4:7] offset:16320
	s_and_saveexec_b64 s[2:3], vcc
	s_cbranch_execz .LBB0_23
; %bb.22:
	v_add_u32_e32 v78, 0x330, v74
	v_lshlrev_b64 v[0:1], 4, v[78:79]
	v_mov_b32_e32 v2, s7
	v_add_co_u32_e32 v0, vcc, s6, v0
	v_addc_co_u32_e32 v1, vcc, v2, v1, vcc
	global_load_dwordx4 v[0:3], v[0:1], off
	ds_read_b128 v[4:7], v141 offset:13056
	ds_read_b128 v[11:14], v10 offset:14688
	s_waitcnt lgkmcnt(0)
	v_add_f64 v[8:9], v[4:5], -v[11:12]
	v_add_f64 v[15:16], v[6:7], v[13:14]
	v_add_f64 v[6:7], v[6:7], -v[13:14]
	v_add_f64 v[4:5], v[4:5], v[11:12]
	v_mul_f64 v[8:9], v[8:9], 0.5
	v_mul_f64 v[13:14], v[15:16], 0.5
	;; [unrolled: 1-line block ×3, first 2 shown]
	s_waitcnt vmcnt(0)
	v_mul_f64 v[11:12], v[8:9], v[2:3]
	v_fma_f64 v[15:16], v[13:14], v[2:3], v[6:7]
	v_fma_f64 v[2:3], v[13:14], v[2:3], -v[6:7]
	v_fma_f64 v[6:7], v[4:5], 0.5, v[11:12]
	v_fma_f64 v[11:12], v[4:5], 0.5, -v[11:12]
	v_fma_f64 v[4:5], -v[0:1], v[8:9], v[15:16]
	v_fma_f64 v[8:9], -v[0:1], v[8:9], v[2:3]
	v_fma_f64 v[2:3], v[13:14], v[0:1], v[6:7]
	v_fma_f64 v[6:7], -v[13:14], v[0:1], v[11:12]
	ds_write_b128 v141, v[2:5] offset:13056
	ds_write_b128 v10, v[6:9] offset:14688
.LBB0_23:
	s_or_b64 exec, exec, s[2:3]
	s_waitcnt lgkmcnt(0)
	s_barrier
	s_and_saveexec_b64 s[2:3], s[0:1]
	s_cbranch_execz .LBB0_26
; %bb.24:
	v_mul_lo_u32 v2, s5, v76
	v_mul_lo_u32 v3, s4, v77
	v_mad_u64_u32 v[0:1], s[0:1], s4, v76, 0
	v_mov_b32_e32 v6, s11
	v_lshl_add_u32 v12, v74, 4, 0
	v_add3_u32 v1, v1, v3, v2
	v_lshlrev_b64 v[0:1], 4, v[0:1]
	v_mov_b32_e32 v75, 0
	v_add_co_u32_e32 v0, vcc, s10, v0
	v_addc_co_u32_e32 v8, vcc, v6, v1, vcc
	v_lshlrev_b64 v[6:7], 4, v[72:73]
	ds_read_b128 v[2:5], v12
	v_add_co_u32_e32 v1, vcc, v0, v6
	v_addc_co_u32_e32 v0, vcc, v8, v7, vcc
	v_lshlrev_b64 v[6:7], 4, v[74:75]
	s_movk_i32 s0, 0x65
	v_add_co_u32_e32 v10, vcc, v1, v6
	v_addc_co_u32_e32 v11, vcc, v0, v7, vcc
	ds_read_b128 v[6:9], v12 offset:1632
	s_waitcnt lgkmcnt(1)
	global_store_dwordx4 v[10:11], v[2:5], off
	s_nop 0
	v_add_u32_e32 v2, 0x66, v74
	v_mov_b32_e32 v3, v75
	v_lshlrev_b64 v[2:3], 4, v[2:3]
	v_add_co_u32_e32 v2, vcc, v1, v2
	v_addc_co_u32_e32 v3, vcc, v0, v3, vcc
	s_waitcnt lgkmcnt(0)
	global_store_dwordx4 v[2:3], v[6:9], off
	ds_read_b128 v[2:5], v12 offset:3264
	v_add_u32_e32 v6, 0xcc, v74
	v_mov_b32_e32 v7, v75
	v_lshlrev_b64 v[6:7], 4, v[6:7]
	v_add_co_u32_e32 v10, vcc, v1, v6
	v_addc_co_u32_e32 v11, vcc, v0, v7, vcc
	ds_read_b128 v[6:9], v12 offset:4896
	s_waitcnt lgkmcnt(1)
	global_store_dwordx4 v[10:11], v[2:5], off
	s_nop 0
	v_add_u32_e32 v2, 0x132, v74
	v_mov_b32_e32 v3, v75
	v_lshlrev_b64 v[2:3], 4, v[2:3]
	v_add_co_u32_e32 v2, vcc, v1, v2
	v_addc_co_u32_e32 v3, vcc, v0, v3, vcc
	s_waitcnt lgkmcnt(0)
	global_store_dwordx4 v[2:3], v[6:9], off
	ds_read_b128 v[2:5], v12 offset:6528
	v_add_u32_e32 v6, 0x198, v74
	v_mov_b32_e32 v7, v75
	v_lshlrev_b64 v[6:7], 4, v[6:7]
	;; [unrolled: 17-line block ×8, first 2 shown]
	v_add_co_u32_e32 v6, vcc, v1, v6
	v_addc_co_u32_e32 v7, vcc, v0, v7, vcc
	v_cmp_eq_u32_e32 vcc, s0, v74
	s_waitcnt lgkmcnt(0)
	global_store_dwordx4 v[6:7], v[2:5], off
	s_and_b64 exec, exec, vcc
	s_cbranch_execz .LBB0_26
; %bb.25:
	ds_read_b128 v[2:5], v75 offset:27744
	v_add_co_u32_e32 v6, vcc, 0x6000, v1
	v_addc_co_u32_e32 v7, vcc, 0, v0, vcc
	s_waitcnt lgkmcnt(0)
	global_store_dwordx4 v[6:7], v[2:5], off offset:3168
.LBB0_26:
	s_endpgm
	.section	.rodata,"a",@progbits
	.p2align	6, 0x0
	.amdhsa_kernel fft_rtc_fwd_len1734_factors_17_17_6_wgs_102_tpt_102_halfLds_dp_op_CI_CI_unitstride_sbrr_R2C_dirReg
		.amdhsa_group_segment_fixed_size 0
		.amdhsa_private_segment_fixed_size 0
		.amdhsa_kernarg_size 104
		.amdhsa_user_sgpr_count 6
		.amdhsa_user_sgpr_private_segment_buffer 1
		.amdhsa_user_sgpr_dispatch_ptr 0
		.amdhsa_user_sgpr_queue_ptr 0
		.amdhsa_user_sgpr_kernarg_segment_ptr 1
		.amdhsa_user_sgpr_dispatch_id 0
		.amdhsa_user_sgpr_flat_scratch_init 0
		.amdhsa_user_sgpr_private_segment_size 0
		.amdhsa_uses_dynamic_stack 0
		.amdhsa_system_sgpr_private_segment_wavefront_offset 0
		.amdhsa_system_sgpr_workgroup_id_x 1
		.amdhsa_system_sgpr_workgroup_id_y 0
		.amdhsa_system_sgpr_workgroup_id_z 0
		.amdhsa_system_sgpr_workgroup_info 0
		.amdhsa_system_vgpr_workitem_id 0
		.amdhsa_next_free_vgpr 180
		.amdhsa_next_free_sgpr 58
		.amdhsa_reserve_vcc 1
		.amdhsa_reserve_flat_scratch 0
		.amdhsa_float_round_mode_32 0
		.amdhsa_float_round_mode_16_64 0
		.amdhsa_float_denorm_mode_32 3
		.amdhsa_float_denorm_mode_16_64 3
		.amdhsa_dx10_clamp 1
		.amdhsa_ieee_mode 1
		.amdhsa_fp16_overflow 0
		.amdhsa_exception_fp_ieee_invalid_op 0
		.amdhsa_exception_fp_denorm_src 0
		.amdhsa_exception_fp_ieee_div_zero 0
		.amdhsa_exception_fp_ieee_overflow 0
		.amdhsa_exception_fp_ieee_underflow 0
		.amdhsa_exception_fp_ieee_inexact 0
		.amdhsa_exception_int_div_zero 0
	.end_amdhsa_kernel
	.text
.Lfunc_end0:
	.size	fft_rtc_fwd_len1734_factors_17_17_6_wgs_102_tpt_102_halfLds_dp_op_CI_CI_unitstride_sbrr_R2C_dirReg, .Lfunc_end0-fft_rtc_fwd_len1734_factors_17_17_6_wgs_102_tpt_102_halfLds_dp_op_CI_CI_unitstride_sbrr_R2C_dirReg
                                        ; -- End function
	.section	.AMDGPU.csdata,"",@progbits
; Kernel info:
; codeLenInByte = 20060
; NumSgprs: 62
; NumVgprs: 180
; ScratchSize: 0
; MemoryBound: 0
; FloatMode: 240
; IeeeMode: 1
; LDSByteSize: 0 bytes/workgroup (compile time only)
; SGPRBlocks: 7
; VGPRBlocks: 44
; NumSGPRsForWavesPerEU: 62
; NumVGPRsForWavesPerEU: 180
; Occupancy: 1
; WaveLimiterHint : 1
; COMPUTE_PGM_RSRC2:SCRATCH_EN: 0
; COMPUTE_PGM_RSRC2:USER_SGPR: 6
; COMPUTE_PGM_RSRC2:TRAP_HANDLER: 0
; COMPUTE_PGM_RSRC2:TGID_X_EN: 1
; COMPUTE_PGM_RSRC2:TGID_Y_EN: 0
; COMPUTE_PGM_RSRC2:TGID_Z_EN: 0
; COMPUTE_PGM_RSRC2:TIDIG_COMP_CNT: 0
	.type	__hip_cuid_38ec660e6ea4b935,@object ; @__hip_cuid_38ec660e6ea4b935
	.section	.bss,"aw",@nobits
	.globl	__hip_cuid_38ec660e6ea4b935
__hip_cuid_38ec660e6ea4b935:
	.byte	0                               ; 0x0
	.size	__hip_cuid_38ec660e6ea4b935, 1

	.ident	"AMD clang version 19.0.0git (https://github.com/RadeonOpenCompute/llvm-project roc-6.4.0 25133 c7fe45cf4b819c5991fe208aaa96edf142730f1d)"
	.section	".note.GNU-stack","",@progbits
	.addrsig
	.addrsig_sym __hip_cuid_38ec660e6ea4b935
	.amdgpu_metadata
---
amdhsa.kernels:
  - .args:
      - .actual_access:  read_only
        .address_space:  global
        .offset:         0
        .size:           8
        .value_kind:     global_buffer
      - .offset:         8
        .size:           8
        .value_kind:     by_value
      - .actual_access:  read_only
        .address_space:  global
        .offset:         16
        .size:           8
        .value_kind:     global_buffer
      - .actual_access:  read_only
        .address_space:  global
        .offset:         24
        .size:           8
        .value_kind:     global_buffer
      - .actual_access:  read_only
        .address_space:  global
        .offset:         32
        .size:           8
        .value_kind:     global_buffer
      - .offset:         40
        .size:           8
        .value_kind:     by_value
      - .actual_access:  read_only
        .address_space:  global
        .offset:         48
        .size:           8
        .value_kind:     global_buffer
      - .actual_access:  read_only
        .address_space:  global
        .offset:         56
        .size:           8
        .value_kind:     global_buffer
      - .offset:         64
        .size:           4
        .value_kind:     by_value
      - .actual_access:  read_only
        .address_space:  global
        .offset:         72
        .size:           8
        .value_kind:     global_buffer
      - .actual_access:  read_only
        .address_space:  global
        .offset:         80
        .size:           8
        .value_kind:     global_buffer
      - .actual_access:  read_only
        .address_space:  global
        .offset:         88
        .size:           8
        .value_kind:     global_buffer
      - .actual_access:  write_only
        .address_space:  global
        .offset:         96
        .size:           8
        .value_kind:     global_buffer
    .group_segment_fixed_size: 0
    .kernarg_segment_align: 8
    .kernarg_segment_size: 104
    .language:       OpenCL C
    .language_version:
      - 2
      - 0
    .max_flat_workgroup_size: 102
    .name:           fft_rtc_fwd_len1734_factors_17_17_6_wgs_102_tpt_102_halfLds_dp_op_CI_CI_unitstride_sbrr_R2C_dirReg
    .private_segment_fixed_size: 0
    .sgpr_count:     62
    .sgpr_spill_count: 0
    .symbol:         fft_rtc_fwd_len1734_factors_17_17_6_wgs_102_tpt_102_halfLds_dp_op_CI_CI_unitstride_sbrr_R2C_dirReg.kd
    .uniform_work_group_size: 1
    .uses_dynamic_stack: false
    .vgpr_count:     180
    .vgpr_spill_count: 0
    .wavefront_size: 64
amdhsa.target:   amdgcn-amd-amdhsa--gfx906
amdhsa.version:
  - 1
  - 2
...

	.end_amdgpu_metadata
